;; amdgpu-corpus repo=ROCm/aiter kind=harvested arch=n/a opt=n/a

/root/src/amdgpu-assembly/repos/ROCm__aiter/hsa/gfx950/fmoe/gelu/fmoe_fp16_noquantBf16_g1u0_vs_atm_inlv_gelu_1tg_ps_32x512.co:	file format elf64-amdgpu

Disassembly of section .text:

0000000000002e00 <_ZN5aiter57fmoe_fp16_noquantBf16_g1u0_vs_atm_inlv_gelu_1tg_ps_32x512E>:
	v_lshrrev_b32_e32 v1, 10, v0                               // 000000002E00: 2002008A
	v_lshrrev_b32_e32 v2, 10, v1                               // 000000002E04: 2004028A
	v_and_b32_e32 v2, 0x3ff, v2                                // 000000002E08: 260404FF 000003FF
	v_and_b32_e32 v1, 0x3ff, v1                                // 000000002E10: 260202FF 000003FF
	v_and_b32_e32 v0, 0x3ff, v0                                // 000000002E18: 260000FF 000003FF
	v_lshrrev_b32_e32 v3, 6, v0                                // 000000002E20: 20060086
	v_and_b32_e32 v0, 63, v0                                   // 000000002E24: 260000BF
	s_mov_b32 s2, s2                                           // 000000002E28: BE820002
	s_mov_b32 s3, s3                                           // 000000002E2C: BE830003
	s_mov_b32 s4, s4                                           // 000000002E30: BE840004
	s_mov_b32 s99, s2                                          // 000000002E34: BEE30002
	v_readfirstlane_b32 s7, v3                                 // 000000002E38: 7E0E0503
	s_and_b32 s1, s1, 0xffff                                   // 000000002E3C: 8601FF01 0000FFFF
	s_mov_b32 s96, 0                                           // 000000002E44: BEE00080
	s_mov_b32 s97, 0                                           // 000000002E48: BEE10080
	s_mov_b32 s100, 0                                          // 000000002E4C: BEE40080
	s_load_dword s96, s[0:1], 0x1a0                            // 000000002E50: C0021800 000001A0
	s_load_dword s97, s[0:1], 0x1b0                            // 000000002E58: C0021840 000001B0
	s_waitcnt lgkmcnt(0)                                       // 000000002E60: BF8CC07F
	s_cmp_eq_u32 s96, 0                                        // 000000002E64: BF068060
	s_cbranch_scc1 label_005C                                  // 000000002E68: BF850041
	v_cvt_f32_u32_e32 v54, s97                                 // 000000002E6C: 7E6C0C61
	s_sub_i32 s60, 0, s97                                      // 000000002E70: 81BC6180
	v_rcp_iflag_f32_e32 v54, v54                               // 000000002E74: 7E6C4736
	s_nop 0                                                    // 000000002E78: BF800000
	v_mul_f32_e32 v54, 0x4f7ffffe, v54                         // 000000002E7C: 0A6C6CFF 4F7FFFFE
	v_cvt_u32_f32_e32 v54, v54                                 // 000000002E84: 7E6C0F36
	v_mul_lo_u32 v55, s60, v54                                 // 000000002E88: D2850037 00026C3C
	v_mul_hi_u32 v55, v54, v55                                 // 000000002E90: D2860037 00026F36
	v_add_u32_e32 v54, v54, v55                                // 000000002E98: 686C6F36
	v_mul_hi_u32 v54, s96, v54                                 // 000000002E9C: D2860036 00026C60
	v_mul_lo_u32 v55, v54, s97                                 // 000000002EA4: D2850037 0000C336
	v_sub_u32_e32 v57, s96, v55                                // 000000002EAC: 6A726E60
	v_add_u32_e32 v56, 1, v54                                  // 000000002EB0: 68706C81
	v_cmp_le_u32_e32 vcc, s97, v57                             // 000000002EB4: 7D967261
	v_subrev_u32_e32 v55, s97, v57                             // 000000002EB8: 6C6E7261
	s_nop 0                                                    // 000000002EBC: BF800000
	v_cndmask_b32_e32 v54, v54, v56, vcc                       // 000000002EC0: 006C7136
	v_cndmask_b32_e32 v57, v57, v55, vcc                       // 000000002EC4: 00726F39
	v_add_u32_e32 v55, 1, v54                                  // 000000002EC8: 686E6C81
	v_cmp_le_u32_e32 vcc, s97, v57                             // 000000002ECC: 7D967261
	s_nop 1                                                    // 000000002ED0: BF800001
	v_cndmask_b32_e32 v57, v54, v55, vcc                       // 000000002ED4: 00726F36
	s_nop 3                                                    // 000000002ED8: BF800003
	v_readfirstlane_b32 s98, v57                               // 000000002EDC: 7EC40539
	s_nop 3                                                    // 000000002EE0: BF800003

0000000000002ee4 <label_0039>:
	s_mov_b32 s4, 0                                            // 000000002EE4: BE840080
	v_cvt_f32_u32_e32 v54, s97                                 // 000000002EE8: 7E6C0C61
	s_sub_i32 s60, 0, s97                                      // 000000002EEC: 81BC6180
	v_rcp_iflag_f32_e32 v54, v54                               // 000000002EF0: 7E6C4736
	s_nop 0                                                    // 000000002EF4: BF800000
	v_mul_f32_e32 v54, 0x4f7ffffe, v54                         // 000000002EF8: 0A6C6CFF 4F7FFFFE
	v_cvt_u32_f32_e32 v54, v54                                 // 000000002F00: 7E6C0F36
	v_mul_lo_u32 v55, s60, v54                                 // 000000002F04: D2850037 00026C3C
	v_mul_hi_u32 v55, v54, v55                                 // 000000002F0C: D2860037 00026F36
	v_add_u32_e32 v54, v54, v55                                // 000000002F14: 686C6F36
	v_mul_hi_u32 v54, s99, v54                                 // 000000002F18: D2860036 00026C63
	v_mul_lo_u32 v55, v54, s97                                 // 000000002F20: D2850037 0000C336
	v_sub_u32_e32 v57, s99, v55                                // 000000002F28: 6A726E63
	v_add_u32_e32 v56, 1, v54                                  // 000000002F2C: 68706C81
	v_cmp_le_u32_e32 vcc, s97, v57                             // 000000002F30: 7D967261
	v_subrev_u32_e32 v55, s97, v57                             // 000000002F34: 6C6E7261
	s_nop 0                                                    // 000000002F38: BF800000
	v_cndmask_b32_e32 v54, v54, v56, vcc                       // 000000002F3C: 006C7136
	v_cndmask_b32_e32 v57, v57, v55, vcc                       // 000000002F40: 00726F39
	v_add_u32_e32 v55, 1, v54                                  // 000000002F44: 686E6C81
	v_cmp_le_u32_e32 vcc, s97, v57                             // 000000002F48: 7D967261
	s_nop 1                                                    // 000000002F4C: BF800001
	v_cndmask_b32_e32 v57, v54, v55, vcc                       // 000000002F50: 00726F36
	s_nop 3                                                    // 000000002F54: BF800003
	v_readfirstlane_b32 s3, v57                                // 000000002F58: 7E060539
	s_nop 3                                                    // 000000002F5C: BF800003
	s_mul_i32 s60, s3, s97                                     // 000000002F60: 923C6103
	s_sub_u32 s2, s99, s60                                     // 000000002F64: 80823C63
	s_mul_i32 s60, s98, s100                                   // 000000002F68: 923C6462
	s_add_i32 s3, s3, s60                                      // 000000002F6C: 81033C03

0000000000002f70 <label_005C>:
	s_and_b32 s1, s1, 0xffff                                   // 000000002F70: 8601FF01 0000FFFF
	s_load_dwordx2 s[8:9], s[0:1], 0x0                         // 000000002F78: C0060200 00000000
	s_load_dwordx2 s[16:17], s[0:1], 0x10                      // 000000002F80: C0060400 00000010
	s_load_dwordx2 s[20:21], s[0:1], 0x20                      // 000000002F88: C0060500 00000020
	s_load_dwordx2 s[32:33], s[0:1], 0x30                      // 000000002F90: C0060800 00000030
	s_load_dwordx2 s[12:13], s[0:1], 0x40                      // 000000002F98: C0060300 00000040
	s_load_dwordx2 s[28:29], s[0:1], 0x90                      // 000000002FA0: C0060700 00000090
	s_load_dwordx2 s[24:25], s[0:1], 0xa0                      // 000000002FA8: C0060600 000000A0
	s_load_dwordx2 s[30:31], s[0:1], 0xb0                      // 000000002FB0: C0060780 000000B0
	s_load_dword s64, s[0:1], 0xc0                             // 000000002FB8: C0021000 000000C0
	s_load_dword s65, s[0:1], 0xd0                             // 000000002FC0: C0021040 000000D0
	s_load_dword s67, s[0:1], 0xf0                             // 000000002FC8: C00210C0 000000F0
	s_load_dword s68, s[0:1], 0x100                            // 000000002FD0: C0021100 00000100
	s_load_dword s69, s[0:1], 0x110                            // 000000002FD8: C0021140 00000110
	s_load_dword s70, s[0:1], 0x120                            // 000000002FE0: C0021180 00000120
	s_load_dword s71, s[0:1], 0x130                            // 000000002FE8: C00211C0 00000130
	s_load_dword s72, s[0:1], 0x140                            // 000000002FF0: C0021200 00000140
	s_load_dword s73, s[0:1], 0x150                            // 000000002FF8: C0021240 00000150
	s_mov_b32 s2, s2                                           // 000000003000: BE820002
	s_mov_b32 s3, s3                                           // 000000003004: BE830003
	s_mov_b32 s4, s4                                           // 000000003008: BE840004
	s_waitcnt lgkmcnt(0)                                       // 00000000300C: BF8CC07F
	s_and_b32 s33, s33, 0xffff                                 // 000000003010: 8621FF21 0000FFFF
	s_load_dword s66, s[32:33], 0x4                            // 000000003018: C0021090 00000004
	s_load_dword s32, s[32:33], 0x0                            // 000000003020: C0020810 00000000
	s_waitcnt lgkmcnt(0)                                       // 000000003028: BF8CC07F
	s_and_b32 s29, s29, 0xffff                                 // 00000000302C: 861DFF1D 0000FFFF
	s_and_b32 s31, s31, 0xffff                                 // 000000003034: 861FFF1F 0000FFFF
	s_and_b32 s9, s9, 0xffff                                   // 00000000303C: 8609FF09 0000FFFF
	s_mul_i32 s60, s66, s68                                    // 000000003044: 923C4442
	s_mul_i32 s62, s66, s71                                    // 000000003048: 923E4742
	s_mov_b32 s18, s60                                         // 00000000304C: BE92003C
	s_mov_b32 s22, -16                                         // 000000003050: BE9600D0
	s_mov_b32 s14, -16                                         // 000000003054: BE8E00D0
	s_mov_b32 s26, -16                                         // 000000003058: BE9A00D0
	s_mov_b32 s19, 0x20000                                     // 00000000305C: BE9300FF 00020000
	s_mov_b32 s23, 0x20000                                     // 000000003064: BE9700FF 00020000
	s_mov_b32 s15, 0x20000                                     // 00000000306C: BE8F00FF 00020000
	s_mov_b32 s27, 0x20000                                     // 000000003074: BE9B00FF 00020000
	s_and_b32 s17, s17, 0xffff                                 // 00000000307C: 8611FF11 0000FFFF
	s_and_b32 s21, s21, 0xffff                                 // 000000003084: 8615FF15 0000FFFF
	s_and_b32 s13, s13, 0xffff                                 // 00000000308C: 860DFF0D 0000FFFF
	s_and_b32 s25, s25, 0xffff                                 // 000000003094: 8619FF19 0000FFFF
	s_or_b32 s17, s17, 0x40000                                 // 00000000309C: 8711FF11 00040000
	s_or_b32 s21, s21, 0x40000                                 // 0000000030A4: 8715FF15 00040000
	s_or_b32 s13, s13, 0x40000                                 // 0000000030AC: 870DFF0D 00040000
	s_or_b32 s25, s25, 0x40000                                 // 0000000030B4: 8719FF19 00040000
	v_accvgpr_write_b32 a255, 0                                // 0000000030BC: D3D940FF 18000080
	v_mov_b32_e32 v255, 0                                      // 0000000030C4: 7FFE0280
	s_waitcnt lgkmcnt(0)                                       // 0000000030C8: BF8CC07F
	s_mul_i32 s60, s3, 32                                      // 0000000030CC: 923CA003
	s_cmp_lt_i32 s60, s32                                      // 0000000030D0: BF04203C
	s_cbranch_scc0 label_1AE4                                  // 0000000030D4: BF841A2E
	s_mov_b32 s80, 0                                           // 0000000030D8: BED00080
	s_mov_b32 s81, s64                                         // 0000000030DC: BED10040
	s_mul_i32 s60, s3, 4                                       // 0000000030E0: 923C8403
	s_add_u32 s30, s60, s30                                    // 0000000030E4: 801E1E3C
	s_addc_u32 s31, 0, s31                                     // 0000000030E8: 821F1F80
	s_load_dword s5, s[30:31], 0x0                             // 0000000030EC: C002014F 00000000
	s_mul_i32 s60, s3, 32                                      // 0000000030F4: 923CA003
	s_add_u32 s60, s7, s60                                     // 0000000030F8: 803C3C07
	s_mul_i32 s60, 4, s60                                      // 0000000030FC: 923C3C84
	s_add_u32 s28, s60, s28                                    // 000000003100: 801C1C3C
	s_addc_u32 s29, 0, s29                                     // 000000003104: 821D1D80
	s_load_dword s82, s[28:29], 0x0                            // 000000003108: C002148E 00000000
	s_load_dword s83, s[28:29], 0x10                           // 000000003110: C00214CE 00000010
	s_load_dword s84, s[28:29], 0x20                           // 000000003118: C002150E 00000020
	s_load_dword s85, s[28:29], 0x30                           // 000000003120: C002154E 00000030
	s_load_dword s86, s[28:29], 0x40                           // 000000003128: C002158E 00000040
	s_load_dword s87, s[28:29], 0x50                           // 000000003130: C00215CE 00000050
	s_load_dword s88, s[28:29], 0x60                           // 000000003138: C002160E 00000060
	s_load_dword s89, s[28:29], 0x70                           // 000000003140: C002164E 00000070
	s_mul_i32 s60, s3, 32                                      // 000000003148: 923CA003
	s_mul_i32 s60, 4, s60                                      // 00000000314C: 923C3C84
	s_add_u32 s24, s60, s24                                    // 000000003150: 8018183C
	s_addc_u32 s25, 0, s25                                     // 000000003154: 82191980
	v_and_b32_e32 v54, 15, v0                                  // 000000003158: 266C008F
	v_lshlrev_b32_e32 v6, 2, v54                               // 00000000315C: 240C6C82
	v_add_u32_e32 v7, 64, v6                                   // 000000003160: 680E0CC0
	buffer_load_dword v8, v6, s[24:27], 0 offen                // 000000003164: E0501000 80060806
	buffer_load_dword v9, v7, s[24:27], 0 offen                // 00000000316C: E0501000 80060907
	s_waitcnt lgkmcnt(0)                                       // 000000003174: BF8CC07F
	v_lshlrev_b32_e32 v54, 2, v0                               // 000000003178: 246C0082
	s_and_b32 s82, s82, 0xffffff                               // 00000000317C: 8652FF52 00FFFFFF
	s_mul_i32 s60, s82, s68                                    // 000000003184: 923C4452
	v_add_u32_e64 v10, v54, s60                                // 000000003188: D134000A 00007936
	s_and_b32 s83, s83, 0xffffff                               // 000000003190: 8653FF53 00FFFFFF
	s_mul_i32 s60, s83, s68                                    // 000000003198: 923C4453
	v_add_u32_e64 v11, v54, s60                                // 00000000319C: D134000B 00007936
	s_and_b32 s84, s84, 0xffffff                               // 0000000031A4: 8654FF54 00FFFFFF
	s_mul_i32 s60, s84, s68                                    // 0000000031AC: 923C4454
	v_add_u32_e64 v12, v54, s60                                // 0000000031B0: D134000C 00007936
	s_and_b32 s85, s85, 0xffffff                               // 0000000031B8: 8655FF55 00FFFFFF
	s_mul_i32 s60, s85, s68                                    // 0000000031C0: 923C4455
	v_add_u32_e64 v13, v54, s60                                // 0000000031C4: D134000D 00007936
	s_and_b32 s86, s86, 0xffffff                               // 0000000031CC: 8656FF56 00FFFFFF
	s_mul_i32 s60, s86, s68                                    // 0000000031D4: 923C4456
	v_add_u32_e64 v14, v54, s60                                // 0000000031D8: D134000E 00007936
	s_and_b32 s87, s87, 0xffffff                               // 0000000031E0: 8657FF57 00FFFFFF
	s_mul_i32 s60, s87, s68                                    // 0000000031E8: 923C4457
	v_add_u32_e64 v15, v54, s60                                // 0000000031EC: D134000F 00007936
	s_and_b32 s88, s88, 0xffffff                               // 0000000031F4: 8658FF58 00FFFFFF
	s_mul_i32 s60, s88, s68                                    // 0000000031FC: 923C4458
	v_add_u32_e64 v16, v54, s60                                // 000000003200: D1340010 00007936
	s_and_b32 s89, s89, 0xffffff                               // 000000003208: 8659FF59 00FFFFFF
	s_mul_i32 s60, s89, s68                                    // 000000003210: 923C4459
	v_add_u32_e64 v17, v54, s60                                // 000000003214: D1340011 00007936
	v_lshlrev_b32_e32 v54, 2, v0                               // 00000000321C: 246C0082
	s_mul_i32 s60, s82, s71                                    // 000000003220: 923C4752
	v_add_u32_e64 v34, v54, s60                                // 000000003224: D1340022 00007936
	v_mov_b32_e32 v35, 0                                       // 00000000322C: 7E460280
	s_mul_i32 s60, s83, s71                                    // 000000003230: 923C4753
	v_add_u32_e64 v36, v54, s60                                // 000000003234: D1340024 00007936
	v_mov_b32_e32 v37, 0                                       // 00000000323C: 7E4A0280
	s_mul_i32 s60, s84, s71                                    // 000000003240: 923C4754
	v_add_u32_e64 v38, v54, s60                                // 000000003244: D1340026 00007936
	v_mov_b32_e32 v39, 0                                       // 00000000324C: 7E4E0280
	s_mul_i32 s60, s85, s71                                    // 000000003250: 923C4755
	v_add_u32_e64 v40, v54, s60                                // 000000003254: D1340028 00007936
	v_mov_b32_e32 v41, 0                                       // 00000000325C: 7E520280
	s_mul_i32 s60, s86, s71                                    // 000000003260: 923C4756
	v_add_u32_e64 v42, v54, s60                                // 000000003264: D134002A 00007936
	v_mov_b32_e32 v43, 0                                       // 00000000326C: 7E560280
	s_mul_i32 s60, s87, s71                                    // 000000003270: 923C4757
	v_add_u32_e64 v44, v54, s60                                // 000000003274: D134002C 00007936
	v_mov_b32_e32 v45, 0                                       // 00000000327C: 7E5A0280
	s_mul_i32 s60, s88, s71                                    // 000000003280: 923C4758
	v_add_u32_e64 v46, v54, s60                                // 000000003284: D134002E 00007936
	v_mov_b32_e32 v47, 0                                       // 00000000328C: 7E5E0280
	s_mul_i32 s60, s89, s71                                    // 000000003290: 923C4759
	v_add_u32_e64 v48, v54, s60                                // 000000003294: D1340030 00007936
	v_mov_b32_e32 v49, 0                                       // 00000000329C: 7E620280
	s_mul_i32 s60, s7, 0x820                                   // 0000000032A0: 923CFF07 00000820
	s_add_u32 s36, 0, s60                                      // 0000000032A8: 80243C80
	s_add_u32 s37, 0x2080, s36                                 // 0000000032AC: 802524FF 00002080
	v_lshrrev_b32_e32 v54, 4, v0                               // 0000000032B4: 206C0084
	v_lshlrev_b32_e32 v55, 2, v54                              // 0000000032B8: 246E6C82
	v_and_b32_e32 v54, 15, v0                                  // 0000000032BC: 266C008F
	v_lshrrev_b32_e32 v56, 2, v54                              // 0000000032C0: 20706C82
	v_lshlrev_b32_e32 v56, 6, v56                              // 0000000032C4: 24707086
	v_add_u32_e32 v55, v56, v55                                // 0000000032C8: 686E6F38
	v_and_b32_e32 v54, 3, v0                                   // 0000000032CC: 266C0083
	v_mul_i32_i24_e32 v56, 0x208, v54                          // 0000000032D0: 0C706CFF 00000208
	v_add_u32_e32 v55, v56, v55                                // 0000000032D8: 686E6F38
	v_lshlrev_b32_e32 v2, 2, v55                               // 0000000032DC: 24046E82
	s_mul_i32 s60, s2, 0x200                                   // 0000000032E0: 923CFF02 00000200
	s_mul_i32 s60, s60, s69                                    // 0000000032E8: 923C453C
	s_mul_i32 s61, s5, s72                                     // 0000000032EC: 923D4805
	s_add_u32 s60, s61, s60                                    // 0000000032F0: 803C3C3D
	s_add_u32 s20, s60, s20                                    // 0000000032F4: 8014143C
	s_addc_u32 s21, 0, s21                                     // 0000000032F8: 82151580
	s_mul_i32 s60, s7, 16                                      // 0000000032FC: 923C9007
	s_mul_i32 s60, s60, s69                                    // 000000003300: 923C453C
	v_lshlrev_b32_e32 v26, 4, v0                               // 000000003304: 24340084
	v_add_u32_e32 v26, s60, v26                                // 000000003308: 6834343C
	s_mul_i32 s60, 64, s69                                     // 00000000330C: 923C45C0
	v_add_u32_e32 v27, s60, v26                                // 000000003310: 6836343C
	v_add_u32_e32 v28, s60, v27                                // 000000003314: 6838363C
	v_add_u32_e32 v29, s60, v28                                // 000000003318: 683A383C
	v_add_u32_e32 v30, s60, v29                                // 00000000331C: 683C3A3C
	v_add_u32_e32 v31, s60, v30                                // 000000003320: 683E3C3C
	v_add_u32_e32 v32, s60, v31                                // 000000003324: 68403E3C
	v_add_u32_e32 v33, s60, v32                                // 000000003328: 6842403C
	s_mul_i32 s60, s2, 0x4000                                  // 00000000332C: 923CFF02 00004000
	s_mul_i32 s61, s5, s73                                     // 000000003334: 923D4905
	s_add_u32 s60, s61, s60                                    // 000000003338: 803C3C3D
	s_add_u32 s12, s60, s12                                    // 00000000333C: 800C0C3C
	s_addc_u32 s13, 0, s13                                     // 000000003340: 820D0D80
	s_mul_i32 s60, s7, 16                                      // 000000003344: 923C9007
	s_mul_i32 s60, s60, s70                                    // 000000003348: 923C463C
	v_lshlrev_b32_e32 v18, 4, v0                               // 00000000334C: 24240084
	v_add_u32_e32 v18, s60, v18                                // 000000003350: 6824243C
	s_mul_i32 s60, 64, s70                                     // 000000003354: 923C46C0
	v_add_u32_e32 v19, s60, v18                                // 000000003358: 6826243C
	v_add_u32_e32 v20, 0x1000, v18                             // 00000000335C: 682824FF 00001000
	v_add_u32_e32 v21, 0x1000, v19                             // 000000003364: 682A26FF 00001000
	v_add_u32_e32 v22, 0x1000, v20                             // 00000000336C: 682C28FF 00001000
	v_add_u32_e32 v23, 0x1000, v21                             // 000000003374: 682E2AFF 00001000
	v_add_u32_e32 v24, 0x1000, v22                             // 00000000337C: 68302CFF 00001000
	v_add_u32_e32 v25, 0x1000, v23                             // 000000003384: 68322EFF 00001000
	s_mul_i32 s56, s70, 0x80                                   // 00000000338C: 9238FF46 00000080
	s_mov_b32 s57, 0x100                                       // 000000003394: BEB900FF 00000100
	s_mov_b32 s58, 0x1000                                      // 00000000339C: BEBA00FF 00001000
	s_mov_b32 s59, 0                                           // 0000000033A4: BEBB0080
	s_mov_b32 s52, 0x7060302                                   // 0000000033A8: BEB400FF 07060302
	s_mov_b32 s6, 0x3fb8aa3b                                   // 0000000033B0: BE8600FF 3FB8AA3B
	s_mov_b32 s77, 0xbd92220c                                  // 0000000033B8: BECD00FF BD92220C
	s_mov_b32 m0, s36                                          // 0000000033C0: BEFC0024
	v_mov_b32_e32 v5, 0xbfcc4231                               // 0000000033C4: 7E0A02FF BFCC4231
	v_mov_b32_e32 v51, 0xffff0000                              // 0000000033CC: 7E6602FF FFFF0000
	v_mov_b32_e32 v52, 0x7fff0000                              // 0000000033D4: 7E6802FF 7FFF0000
	v_mov_b32_e32 v53, 0x7fff                                  // 0000000033DC: 7E6A02FF 00007FFF
	buffer_load_dword v10, s[16:19], 0 offen lds               // 0000000033E4: E0511000 8004000A
	s_add_u32 m0, 0x100, s36                                   // 0000000033EC: 807C24FF 00000100
	buffer_load_dword v11, s[16:19], 0 offen lds               // 0000000033F4: E0511000 8004000B
	s_add_u32 m0, 0x200, s36                                   // 0000000033FC: 807C24FF 00000200
	buffer_load_dword v12, s[16:19], 0 offen lds               // 000000003404: E0511000 8004000C
	s_add_u32 m0, 0x300, s36                                   // 00000000340C: 807C24FF 00000300
	buffer_load_dword v13, s[16:19], 0 offen lds               // 000000003414: E0511000 8004000D
	s_add_u32 m0, 0x400, s36                                   // 00000000341C: 807C24FF 00000400
	buffer_load_dword v14, s[16:19], 0 offen lds               // 000000003424: E0511000 8004000E
	s_add_u32 m0, 0x500, s36                                   // 00000000342C: 807C24FF 00000500
	buffer_load_dword v15, s[16:19], 0 offen lds               // 000000003434: E0511000 8004000F
	s_add_u32 m0, 0x600, s36                                   // 00000000343C: 807C24FF 00000600
	buffer_load_dword v16, s[16:19], 0 offen lds               // 000000003444: E0511000 80040010
	s_add_u32 m0, 0x700, s36                                   // 00000000344C: 807C24FF 00000700
	buffer_load_dword v17, s[16:19], 0 offen lds               // 000000003454: E0511000 80040011
	s_add_u32 m0, 0, s37                                       // 00000000345C: 807C2580
	s_add_u32 s16, s57, s16                                    // 000000003460: 80101039
	s_addc_u32 s17, 0, s17                                     // 000000003464: 82111180
	buffer_load_dword v10, s[16:19], 0 offen lds               // 000000003468: E0511000 8004000A
	s_add_u32 m0, 0x100, s37                                   // 000000003470: 807C25FF 00000100
	buffer_load_dword v11, s[16:19], 0 offen lds               // 000000003478: E0511000 8004000B
	s_add_u32 m0, 0x200, s37                                   // 000000003480: 807C25FF 00000200
	buffer_load_dword v12, s[16:19], 0 offen lds               // 000000003488: E0511000 8004000C
	s_add_u32 m0, 0x300, s37                                   // 000000003490: 807C25FF 00000300
	buffer_load_dword v13, s[16:19], 0 offen lds               // 000000003498: E0511000 8004000D
	s_add_u32 m0, 0x400, s37                                   // 0000000034A0: 807C25FF 00000400
	buffer_load_dword v14, s[16:19], 0 offen lds               // 0000000034A8: E0511000 8004000E
	s_add_u32 m0, 0x500, s37                                   // 0000000034B0: 807C25FF 00000500
	buffer_load_dword v15, s[16:19], 0 offen lds               // 0000000034B8: E0511000 8004000F
	s_add_u32 m0, 0x600, s37                                   // 0000000034C0: 807C25FF 00000600
	buffer_load_dword v16, s[16:19], 0 offen lds               // 0000000034C8: E0511000 80040010
	s_add_u32 m0, 0x700, s37                                   // 0000000034D0: 807C25FF 00000700
	buffer_load_dword v17, s[16:19], 0 offen lds               // 0000000034D8: E0511000 80040011
	s_add_u32 m0, 0, s36                                       // 0000000034E0: 807C2480
	s_add_u32 s16, s57, s16                                    // 0000000034E4: 80101039
	s_addc_u32 s17, 0, s17                                     // 0000000034E8: 82111180
	buffer_load_dwordx4 a[0:3], v26, s[20:23], 0 offen         // 0000000034EC: E05C1000 8085001A
	buffer_load_dwordx4 a[4:7], v26, s[20:23], 0 offen offset:1024// 0000000034F4: E05C1400 8085041A
	buffer_load_dwordx4 a[8:11], v26, s[20:23], 0 offen offset:2048// 0000000034FC: E05C1800 8085081A
	buffer_load_dwordx4 a[12:15], v26, s[20:23], 0 offen offset:3072// 000000003504: E05C1C00 80850C1A
	buffer_load_dwordx4 a[16:19], v27, s[20:23], 0 offen       // 00000000350C: E05C1000 8085101B
	buffer_load_dwordx4 a[20:23], v27, s[20:23], 0 offen offset:1024// 000000003514: E05C1400 8085141B
	buffer_load_dwordx4 a[24:27], v27, s[20:23], 0 offen offset:2048// 00000000351C: E05C1800 8085181B
	buffer_load_dwordx4 a[28:31], v27, s[20:23], 0 offen offset:3072// 000000003524: E05C1C00 80851C1B
	buffer_load_dwordx4 a[32:35], v28, s[20:23], 0 offen       // 00000000352C: E05C1000 8085201C
	buffer_load_dwordx4 a[36:39], v28, s[20:23], 0 offen offset:1024// 000000003534: E05C1400 8085241C
	buffer_load_dwordx4 a[40:43], v28, s[20:23], 0 offen offset:2048// 00000000353C: E05C1800 8085281C
	buffer_load_dwordx4 a[44:47], v28, s[20:23], 0 offen offset:3072// 000000003544: E05C1C00 80852C1C
	buffer_load_dwordx4 a[48:51], v29, s[20:23], 0 offen       // 00000000354C: E05C1000 8085301D
	buffer_load_dwordx4 a[52:55], v29, s[20:23], 0 offen offset:1024// 000000003554: E05C1400 8085341D
	buffer_load_dwordx4 a[56:59], v29, s[20:23], 0 offen offset:2048// 00000000355C: E05C1800 8085381D
	buffer_load_dwordx4 a[60:63], v29, s[20:23], 0 offen offset:3072// 000000003564: E05C1C00 80853C1D
	buffer_load_dwordx4 a[64:67], v30, s[20:23], 0 offen       // 00000000356C: E05C1000 8085401E
	buffer_load_dwordx4 a[68:71], v30, s[20:23], 0 offen offset:1024// 000000003574: E05C1400 8085441E
	buffer_load_dwordx4 a[72:75], v30, s[20:23], 0 offen offset:2048// 00000000357C: E05C1800 8085481E
	buffer_load_dwordx4 a[76:79], v30, s[20:23], 0 offen offset:3072// 000000003584: E05C1C00 80854C1E
	buffer_load_dwordx4 a[80:83], v31, s[20:23], 0 offen       // 00000000358C: E05C1000 8085501F
	buffer_load_dwordx4 a[84:87], v31, s[20:23], 0 offen offset:1024// 000000003594: E05C1400 8085541F
	buffer_load_dwordx4 a[88:91], v31, s[20:23], 0 offen offset:2048// 00000000359C: E05C1800 8085581F
	buffer_load_dwordx4 a[92:95], v31, s[20:23], 0 offen offset:3072// 0000000035A4: E05C1C00 80855C1F
	buffer_load_dwordx4 a[96:99], v32, s[20:23], 0 offen       // 0000000035AC: E05C1000 80856020
	buffer_load_dwordx4 a[100:103], v32, s[20:23], 0 offen offset:1024// 0000000035B4: E05C1400 80856420
	buffer_load_dwordx4 a[104:107], v32, s[20:23], 0 offen offset:2048// 0000000035BC: E05C1800 80856820
	buffer_load_dwordx4 a[108:111], v32, s[20:23], 0 offen offset:3072// 0000000035C4: E05C1C00 80856C20
	buffer_load_dwordx4 a[112:115], v33, s[20:23], 0 offen     // 0000000035CC: E05C1000 80857021
	buffer_load_dwordx4 a[116:119], v33, s[20:23], 0 offen offset:1024// 0000000035D4: E05C1400 80857421
	buffer_load_dwordx4 a[120:123], v33, s[20:23], 0 offen offset:2048// 0000000035DC: E05C1800 80857821
	buffer_load_dwordx4 a[124:127], v33, s[20:23], 0 offen offset:3072// 0000000035E4: E05C1C00 80857C21
	s_add_u32 s20, s58, s20                                    // 0000000035EC: 8014143A
	s_addc_u32 s21, 0, s21                                     // 0000000035F0: 82151580
	v_mov_b32_e32 v128, 0                                      // 0000000035F4: 7F000280
	v_mov_b32_e32 v129, 0                                      // 0000000035F8: 7F020280
	v_mov_b32_e32 v130, 0                                      // 0000000035FC: 7F040280
	v_mov_b32_e32 v131, 0                                      // 000000003600: 7F060280
	v_mov_b32_e32 v132, 0                                      // 000000003604: 7F080280
	v_mov_b32_e32 v133, 0                                      // 000000003608: 7F0A0280
	v_mov_b32_e32 v134, 0                                      // 00000000360C: 7F0C0280
	v_mov_b32_e32 v135, 0                                      // 000000003610: 7F0E0280
	v_mov_b32_e32 v136, 0                                      // 000000003614: 7F100280
	v_mov_b32_e32 v137, 0                                      // 000000003618: 7F120280
	v_mov_b32_e32 v138, 0                                      // 00000000361C: 7F140280
	v_mov_b32_e32 v139, 0                                      // 000000003620: 7F160280
	v_mov_b32_e32 v140, 0                                      // 000000003624: 7F180280
	v_mov_b32_e32 v141, 0                                      // 000000003628: 7F1A0280
	v_mov_b32_e32 v142, 0                                      // 00000000362C: 7F1C0280
	v_mov_b32_e32 v143, 0                                      // 000000003630: 7F1E0280
	v_mov_b32_e32 v144, 0                                      // 000000003634: 7F200280
	v_mov_b32_e32 v145, 0                                      // 000000003638: 7F220280
	v_mov_b32_e32 v146, 0                                      // 00000000363C: 7F240280
	v_mov_b32_e32 v147, 0                                      // 000000003640: 7F260280
	v_mov_b32_e32 v148, 0                                      // 000000003644: 7F280280
	v_mov_b32_e32 v149, 0                                      // 000000003648: 7F2A0280
	v_mov_b32_e32 v150, 0                                      // 00000000364C: 7F2C0280
	v_mov_b32_e32 v151, 0                                      // 000000003650: 7F2E0280
	v_mov_b32_e32 v152, 0                                      // 000000003654: 7F300280
	v_mov_b32_e32 v153, 0                                      // 000000003658: 7F320280
	v_mov_b32_e32 v154, 0                                      // 00000000365C: 7F340280
	v_mov_b32_e32 v155, 0                                      // 000000003660: 7F360280
	v_mov_b32_e32 v156, 0                                      // 000000003664: 7F380280
	v_mov_b32_e32 v157, 0                                      // 000000003668: 7F3A0280
	v_mov_b32_e32 v158, 0                                      // 00000000366C: 7F3C0280
	v_mov_b32_e32 v159, 0                                      // 000000003670: 7F3E0280
	v_mov_b32_e32 v160, 0                                      // 000000003674: 7F400280
	v_mov_b32_e32 v161, 0                                      // 000000003678: 7F420280
	v_mov_b32_e32 v162, 0                                      // 00000000367C: 7F440280
	v_mov_b32_e32 v163, 0                                      // 000000003680: 7F460280
	v_mov_b32_e32 v164, 0                                      // 000000003684: 7F480280
	v_mov_b32_e32 v165, 0                                      // 000000003688: 7F4A0280
	v_mov_b32_e32 v166, 0                                      // 00000000368C: 7F4C0280
	v_mov_b32_e32 v167, 0                                      // 000000003690: 7F4E0280
	v_mov_b32_e32 v168, 0                                      // 000000003694: 7F500280
	v_mov_b32_e32 v169, 0                                      // 000000003698: 7F520280
	v_mov_b32_e32 v170, 0                                      // 00000000369C: 7F540280
	v_mov_b32_e32 v171, 0                                      // 0000000036A0: 7F560280
	v_mov_b32_e32 v172, 0                                      // 0000000036A4: 7F580280
	v_mov_b32_e32 v173, 0                                      // 0000000036A8: 7F5A0280
	v_mov_b32_e32 v174, 0                                      // 0000000036AC: 7F5C0280
	v_mov_b32_e32 v175, 0                                      // 0000000036B0: 7F5E0280
	v_mov_b32_e32 v176, 0                                      // 0000000036B4: 7F600280
	v_mov_b32_e32 v177, 0                                      // 0000000036B8: 7F620280
	v_mov_b32_e32 v178, 0                                      // 0000000036BC: 7F640280
	v_mov_b32_e32 v179, 0                                      // 0000000036C0: 7F660280
	v_mov_b32_e32 v180, 0                                      // 0000000036C4: 7F680280
	v_mov_b32_e32 v181, 0                                      // 0000000036C8: 7F6A0280
	v_mov_b32_e32 v182, 0                                      // 0000000036CC: 7F6C0280
	v_mov_b32_e32 v183, 0                                      // 0000000036D0: 7F6E0280
	v_mov_b32_e32 v184, 0                                      // 0000000036D4: 7F700280
	v_mov_b32_e32 v185, 0                                      // 0000000036D8: 7F720280
	v_mov_b32_e32 v186, 0                                      // 0000000036DC: 7F740280
	v_mov_b32_e32 v187, 0                                      // 0000000036E0: 7F760280
	v_mov_b32_e32 v188, 0                                      // 0000000036E4: 7F780280
	v_mov_b32_e32 v189, 0                                      // 0000000036E8: 7F7A0280
	v_mov_b32_e32 v190, 0                                      // 0000000036EC: 7F7C0280
	v_mov_b32_e32 v191, 0                                      // 0000000036F0: 7F7E0280
	v_lshrrev_b32_e32 v54, 4, v0                               // 0000000036F4: 206C0084
	v_mul_i32_i24_e32 v3, 34, v54                              // 0000000036F8: 0C066CA2
	v_and_b32_e32 v54, 15, v0                                  // 0000000036FC: 266C008F
	v_mul_i32_i24_e32 v55, 2, v54                              // 000000003700: 0C6E6C82
	v_add_u32_e32 v3, v55, v3                                  // 000000003704: 68060737
	s_mul_i32 s60, s7, 0x88                                    // 000000003708: 923CFF07 00000088
	v_add_u32_e32 v3, s60, v3                                  // 000000003710: 6806063C
	v_lshlrev_b32_e32 v3, 2, v3                                // 000000003714: 24060682
	v_lshrrev_b32_e32 v54, 1, v0                               // 000000003718: 206C0081
	v_mul_i32_i24_e32 v4, 34, v54                              // 00000000371C: 0C086CA2
	v_and_b32_e32 v55, 1, v0                                   // 000000003720: 266E0081
	v_add_u32_e32 v4, v55, v4                                  // 000000003724: 68080937
	s_mul_i32 s60, s7, 2                                       // 000000003728: 923C8207
	v_add_u32_e32 v4, s60, v4                                  // 00000000372C: 6808083C
	v_lshlrev_b32_e32 v4, 2, v4                                // 000000003730: 24080882
	s_waitcnt vmcnt(40)                                        // 000000003734: BF8C8F78
	s_barrier                                                  // 000000003738: BF8A0000
	ds_read_b128 v[64:67], v2                                  // 00000000373C: D9FE0000 40000002
	ds_read_b128 v[68:71], v2 offset:64                        // 000000003744: D9FE0040 44000002
	ds_read_b128 v[72:75], v2 offset:128                       // 00000000374C: D9FE0080 48000002
	ds_read_b128 v[76:79], v2 offset:192                       // 000000003754: D9FE00C0 4C000002
	ds_read_b128 v[80:83], v2 offset:1024                      // 00000000375C: D9FE0400 50000002
	ds_read_b128 v[84:87], v2 offset:1088                      // 000000003764: D9FE0440 54000002
	ds_read_b128 v[88:91], v2 offset:1152                      // 00000000376C: D9FE0480 58000002
	ds_read_b128 v[92:95], v2 offset:1216                      // 000000003774: D9FE04C0 5C000002
	s_cmp_lt_i32 s7, 2                                         // 00000000377C: BF048207
	s_cbranch_scc0 label_0E6A                                  // 000000003780: BF840C09

0000000000003784 <label_0261>:
	s_waitcnt vmcnt(24) lgkmcnt(0)                             // 000000003784: BF8C4078
	s_barrier                                                  // 000000003788: BF8A0000
	v_mfma_f32_16x16x16_bf16 v[128:131], a[0:1], v[64:65], v[128:131]// 00000000378C: D3E10080 0E028100
	v_mfma_f32_16x16x16_bf16 v[128:131], a[2:3], v[66:67], v[128:131]// 000000003794: D3E10080 0E028502
	buffer_load_dwordx4 a[128:131], v26, s[20:23], 0 offen     // 00000000379C: E05C1000 8085801A
	v_mfma_f32_16x16x16_bf16 v[128:131], a[4:5], v[68:69], v[128:131]// 0000000037A4: D3E10080 0E028904
	v_mfma_f32_16x16x16_bf16 v[128:131], a[6:7], v[70:71], v[128:131]// 0000000037AC: D3E10080 0E028D06
	buffer_load_dword v10, s[16:19], 0 offen lds               // 0000000037B4: E0511000 8004000A
	s_add_u32 m0, 0x100, s36                                   // 0000000037BC: 807C24FF 00000100
	v_mfma_f32_16x16x16_bf16 v[128:131], a[8:9], v[72:73], v[128:131]// 0000000037C4: D3E10080 0E029108
	v_mfma_f32_16x16x16_bf16 v[128:131], a[10:11], v[74:75], v[128:131]// 0000000037CC: D3E10080 0E02950A
	buffer_load_dwordx4 a[132:135], v26, s[20:23], 0 offen offset:1024// 0000000037D4: E05C1400 8085841A
	v_mfma_f32_16x16x16_bf16 v[128:131], a[12:13], v[76:77], v[128:131]// 0000000037DC: D3E10080 0E02990C
	v_mfma_f32_16x16x16_bf16 v[128:131], a[14:15], v[78:79], v[128:131]// 0000000037E4: D3E10080 0E029D0E
	buffer_load_dword v11, s[16:19], 0 offen lds               // 0000000037EC: E0511000 8004000B
	s_add_u32 m0, 0x200, s36                                   // 0000000037F4: 807C24FF 00000200
	v_mfma_f32_16x16x16_bf16 v[132:135], a[0:1], v[80:81], v[132:135]// 0000000037FC: D3E10084 0E12A100
	v_mfma_f32_16x16x16_bf16 v[132:135], a[2:3], v[82:83], v[132:135]// 000000003804: D3E10084 0E12A502
	buffer_load_dwordx4 a[136:139], v26, s[20:23], 0 offen offset:2048// 00000000380C: E05C1800 8085881A
	v_mfma_f32_16x16x16_bf16 v[132:135], a[4:5], v[84:85], v[132:135]// 000000003814: D3E10084 0E12A904
	v_mfma_f32_16x16x16_bf16 v[132:135], a[6:7], v[86:87], v[132:135]// 00000000381C: D3E10084 0E12AD06
	buffer_load_dword v12, s[16:19], 0 offen lds               // 000000003824: E0511000 8004000C
	s_add_u32 m0, 0x300, s36                                   // 00000000382C: 807C24FF 00000300
	v_mfma_f32_16x16x16_bf16 v[132:135], a[8:9], v[88:89], v[132:135]// 000000003834: D3E10084 0E12B108
	v_mfma_f32_16x16x16_bf16 v[132:135], a[10:11], v[90:91], v[132:135]// 00000000383C: D3E10084 0E12B50A
	buffer_load_dwordx4 a[140:143], v26, s[20:23], 0 offen offset:3072// 000000003844: E05C1C00 80858C1A
	v_mfma_f32_16x16x16_bf16 v[132:135], a[12:13], v[92:93], v[132:135]// 00000000384C: D3E10084 0E12B90C
	v_mfma_f32_16x16x16_bf16 v[132:135], a[14:15], v[94:95], v[132:135]// 000000003854: D3E10084 0E12BD0E
	buffer_load_dword v13, s[16:19], 0 offen lds               // 00000000385C: E0511000 8004000D
	s_add_u32 m0, 0x400, s36                                   // 000000003864: 807C24FF 00000400
	v_mfma_f32_16x16x16_bf16 v[136:139], a[16:17], v[64:65], v[136:139]// 00000000386C: D3E10088 0E228110
	v_mfma_f32_16x16x16_bf16 v[136:139], a[18:19], v[66:67], v[136:139]// 000000003874: D3E10088 0E228512
	buffer_load_dwordx4 a[144:147], v27, s[20:23], 0 offen     // 00000000387C: E05C1000 8085901B
	v_mfma_f32_16x16x16_bf16 v[136:139], a[20:21], v[68:69], v[136:139]// 000000003884: D3E10088 0E228914
	v_mfma_f32_16x16x16_bf16 v[136:139], a[22:23], v[70:71], v[136:139]// 00000000388C: D3E10088 0E228D16
	buffer_load_dword v14, s[16:19], 0 offen lds               // 000000003894: E0511000 8004000E
	s_add_u32 m0, 0x500, s36                                   // 00000000389C: 807C24FF 00000500
	v_mfma_f32_16x16x16_bf16 v[136:139], a[24:25], v[72:73], v[136:139]// 0000000038A4: D3E10088 0E229118
	v_mfma_f32_16x16x16_bf16 v[136:139], a[26:27], v[74:75], v[136:139]// 0000000038AC: D3E10088 0E22951A
	buffer_load_dwordx4 a[148:151], v27, s[20:23], 0 offen offset:1024// 0000000038B4: E05C1400 8085941B
	v_mfma_f32_16x16x16_bf16 v[136:139], a[28:29], v[76:77], v[136:139]// 0000000038BC: D3E10088 0E22991C
	v_mfma_f32_16x16x16_bf16 v[136:139], a[30:31], v[78:79], v[136:139]// 0000000038C4: D3E10088 0E229D1E
	buffer_load_dword v15, s[16:19], 0 offen lds               // 0000000038CC: E0511000 8004000F
	s_add_u32 m0, 0x600, s36                                   // 0000000038D4: 807C24FF 00000600
	v_mfma_f32_16x16x16_bf16 v[140:143], a[16:17], v[80:81], v[140:143]// 0000000038DC: D3E1008C 0E32A110
	v_mfma_f32_16x16x16_bf16 v[140:143], a[18:19], v[82:83], v[140:143]// 0000000038E4: D3E1008C 0E32A512
	buffer_load_dwordx4 a[152:155], v27, s[20:23], 0 offen offset:2048// 0000000038EC: E05C1800 8085981B
	v_mfma_f32_16x16x16_bf16 v[140:143], a[20:21], v[84:85], v[140:143]// 0000000038F4: D3E1008C 0E32A914
	v_mfma_f32_16x16x16_bf16 v[140:143], a[22:23], v[86:87], v[140:143]// 0000000038FC: D3E1008C 0E32AD16
	buffer_load_dword v16, s[16:19], 0 offen lds               // 000000003904: E0511000 80040010
	s_add_u32 m0, 0x700, s36                                   // 00000000390C: 807C24FF 00000700
	v_mfma_f32_16x16x16_bf16 v[140:143], a[24:25], v[88:89], v[140:143]// 000000003914: D3E1008C 0E32B118
	v_mfma_f32_16x16x16_bf16 v[140:143], a[26:27], v[90:91], v[140:143]// 00000000391C: D3E1008C 0E32B51A
	buffer_load_dwordx4 a[156:159], v27, s[20:23], 0 offen offset:3072// 000000003924: E05C1C00 80859C1B
	v_mfma_f32_16x16x16_bf16 v[140:143], a[28:29], v[92:93], v[140:143]// 00000000392C: D3E1008C 0E32B91C
	v_mfma_f32_16x16x16_bf16 v[140:143], a[30:31], v[94:95], v[140:143]// 000000003934: D3E1008C 0E32BD1E
	buffer_load_dword v17, s[16:19], 0 offen lds               // 00000000393C: E0511000 80040011
	s_add_u32 m0, 0, s37                                       // 000000003944: 807C2580
	s_waitcnt vmcnt(32)                                        // 000000003948: BF8C8F70
	v_mfma_f32_16x16x16_bf16 v[144:147], a[32:33], v[64:65], v[144:147]// 00000000394C: D3E10090 0E428120
	v_mfma_f32_16x16x16_bf16 v[144:147], a[34:35], v[66:67], v[144:147]// 000000003954: D3E10090 0E428522
	buffer_load_dwordx4 a[160:163], v28, s[20:23], 0 offen     // 00000000395C: E05C1000 8085A01C
	v_mfma_f32_16x16x16_bf16 v[144:147], a[36:37], v[68:69], v[144:147]// 000000003964: D3E10090 0E428924
	v_mfma_f32_16x16x16_bf16 v[144:147], a[38:39], v[70:71], v[144:147]// 00000000396C: D3E10090 0E428D26
	ds_read_b128 v[96:99], v2 offset:8320                      // 000000003974: D9FE2080 60000002
	v_mfma_f32_16x16x16_bf16 v[144:147], a[40:41], v[72:73], v[144:147]// 00000000397C: D3E10090 0E429128
	v_mfma_f32_16x16x16_bf16 v[144:147], a[42:43], v[74:75], v[144:147]// 000000003984: D3E10090 0E42952A
	buffer_load_dwordx4 a[164:167], v28, s[20:23], 0 offen offset:1024// 00000000398C: E05C1400 8085A41C
	v_mfma_f32_16x16x16_bf16 v[144:147], a[44:45], v[76:77], v[144:147]// 000000003994: D3E10090 0E42992C
	v_mfma_f32_16x16x16_bf16 v[144:147], a[46:47], v[78:79], v[144:147]// 00000000399C: D3E10090 0E429D2E
	ds_read_b128 v[100:103], v2 offset:8384                    // 0000000039A4: D9FE20C0 64000002
	v_mfma_f32_16x16x16_bf16 v[148:151], a[32:33], v[80:81], v[148:151]// 0000000039AC: D3E10094 0E52A120
	v_mfma_f32_16x16x16_bf16 v[148:151], a[34:35], v[82:83], v[148:151]// 0000000039B4: D3E10094 0E52A522
	buffer_load_dwordx4 a[168:171], v28, s[20:23], 0 offen offset:2048// 0000000039BC: E05C1800 8085A81C
	v_mfma_f32_16x16x16_bf16 v[148:151], a[36:37], v[84:85], v[148:151]// 0000000039C4: D3E10094 0E52A924
	v_mfma_f32_16x16x16_bf16 v[148:151], a[38:39], v[86:87], v[148:151]// 0000000039CC: D3E10094 0E52AD26
	ds_read_b128 v[104:107], v2 offset:8448                    // 0000000039D4: D9FE2100 68000002
	v_mfma_f32_16x16x16_bf16 v[148:151], a[40:41], v[88:89], v[148:151]// 0000000039DC: D3E10094 0E52B128
	v_mfma_f32_16x16x16_bf16 v[148:151], a[42:43], v[90:91], v[148:151]// 0000000039E4: D3E10094 0E52B52A
	buffer_load_dwordx4 a[172:175], v28, s[20:23], 0 offen offset:3072// 0000000039EC: E05C1C00 8085AC1C
	v_mfma_f32_16x16x16_bf16 v[148:151], a[44:45], v[92:93], v[148:151]// 0000000039F4: D3E10094 0E52B92C
	v_mfma_f32_16x16x16_bf16 v[148:151], a[46:47], v[94:95], v[148:151]// 0000000039FC: D3E10094 0E52BD2E
	ds_read_b128 v[108:111], v2 offset:8512                    // 000000003A04: D9FE2140 6C000002
	v_mfma_f32_16x16x16_bf16 v[152:155], a[48:49], v[64:65], v[152:155]// 000000003A0C: D3E10098 0E628130
	v_mfma_f32_16x16x16_bf16 v[152:155], a[50:51], v[66:67], v[152:155]// 000000003A14: D3E10098 0E628532
	buffer_load_dwordx4 a[176:179], v29, s[20:23], 0 offen     // 000000003A1C: E05C1000 8085B01D
	v_mfma_f32_16x16x16_bf16 v[152:155], a[52:53], v[68:69], v[152:155]// 000000003A24: D3E10098 0E628934
	v_mfma_f32_16x16x16_bf16 v[152:155], a[54:55], v[70:71], v[152:155]// 000000003A2C: D3E10098 0E628D36
	ds_read_b128 v[112:115], v2 offset:9344                    // 000000003A34: D9FE2480 70000002
	v_mfma_f32_16x16x16_bf16 v[152:155], a[56:57], v[72:73], v[152:155]// 000000003A3C: D3E10098 0E629138
	v_mfma_f32_16x16x16_bf16 v[152:155], a[58:59], v[74:75], v[152:155]// 000000003A44: D3E10098 0E62953A
	buffer_load_dwordx4 a[180:183], v29, s[20:23], 0 offen offset:1024// 000000003A4C: E05C1400 8085B41D
	v_mfma_f32_16x16x16_bf16 v[152:155], a[60:61], v[76:77], v[152:155]// 000000003A54: D3E10098 0E62993C
	v_mfma_f32_16x16x16_bf16 v[152:155], a[62:63], v[78:79], v[152:155]// 000000003A5C: D3E10098 0E629D3E
	ds_read_b128 v[116:119], v2 offset:9408                    // 000000003A64: D9FE24C0 74000002
	v_mfma_f32_16x16x16_bf16 v[156:159], a[48:49], v[80:81], v[156:159]// 000000003A6C: D3E1009C 0E72A130
	v_mfma_f32_16x16x16_bf16 v[156:159], a[50:51], v[82:83], v[156:159]// 000000003A74: D3E1009C 0E72A532
	buffer_load_dwordx4 a[184:187], v29, s[20:23], 0 offen offset:2048// 000000003A7C: E05C1800 8085B81D
	v_mfma_f32_16x16x16_bf16 v[156:159], a[52:53], v[84:85], v[156:159]// 000000003A84: D3E1009C 0E72A934
	v_mfma_f32_16x16x16_bf16 v[156:159], a[54:55], v[86:87], v[156:159]// 000000003A8C: D3E1009C 0E72AD36
	ds_read_b128 v[120:123], v2 offset:9472                    // 000000003A94: D9FE2500 78000002
	v_mfma_f32_16x16x16_bf16 v[156:159], a[56:57], v[88:89], v[156:159]// 000000003A9C: D3E1009C 0E72B138
	v_mfma_f32_16x16x16_bf16 v[156:159], a[58:59], v[90:91], v[156:159]// 000000003AA4: D3E1009C 0E72B53A
	buffer_load_dwordx4 a[188:191], v29, s[20:23], 0 offen offset:3072// 000000003AAC: E05C1C00 8085BC1D
	v_mfma_f32_16x16x16_bf16 v[156:159], a[60:61], v[92:93], v[156:159]// 000000003AB4: D3E1009C 0E72B93C
	v_mfma_f32_16x16x16_bf16 v[156:159], a[62:63], v[94:95], v[156:159]// 000000003ABC: D3E1009C 0E72BD3E
	ds_read_b128 v[124:127], v2 offset:9536                    // 000000003AC4: D9FE2540 7C000002
	s_waitcnt vmcnt(32)                                        // 000000003ACC: BF8C8F70
	v_mfma_f32_16x16x16_bf16 v[160:163], a[64:65], v[64:65], v[160:163]// 000000003AD0: D3E100A0 0E828140
	v_mfma_f32_16x16x16_bf16 v[160:163], a[66:67], v[66:67], v[160:163]// 000000003AD8: D3E100A0 0E828542
	buffer_load_dwordx4 a[192:195], v30, s[20:23], 0 offen     // 000000003AE0: E05C1000 8085C01E
	v_mfma_f32_16x16x16_bf16 v[160:163], a[68:69], v[68:69], v[160:163]// 000000003AE8: D3E100A0 0E828944
	s_add_u32 s60, 0x180, s80                                  // 000000003AF0: 803C50FF 00000180
	s_cmp_lt_u32 s60, s81                                      // 000000003AF8: BF0A513C
	s_cselect_b32 s57, s57, 0                                  // 000000003AFC: 85398039
	v_mfma_f32_16x16x16_bf16 v[160:163], a[70:71], v[70:71], v[160:163]// 000000003B00: D3E100A0 0E828D46
	v_mfma_f32_16x16x16_bf16 v[160:163], a[72:73], v[72:73], v[160:163]// 000000003B08: D3E100A0 0E829148
	v_mfma_f32_16x16x16_bf16 v[160:163], a[74:75], v[74:75], v[160:163]// 000000003B10: D3E100A0 0E82954A
	buffer_load_dwordx4 a[196:199], v30, s[20:23], 0 offen offset:1024// 000000003B18: E05C1400 8085C41E
	v_mfma_f32_16x16x16_bf16 v[160:163], a[76:77], v[76:77], v[160:163]// 000000003B20: D3E100A0 0E82994C
	s_add_u32 s60, 0x100, s80                                  // 000000003B28: 803C50FF 00000100
	s_cmp_lt_u32 s60, s81                                      // 000000003B30: BF0A513C
	s_cselect_b32 s58, s58, 0                                  // 000000003B34: 853A803A
	v_mfma_f32_16x16x16_bf16 v[160:163], a[78:79], v[78:79], v[160:163]// 000000003B38: D3E100A0 0E829D4E
	v_mfma_f32_16x16x16_bf16 v[164:167], a[64:65], v[80:81], v[164:167]// 000000003B40: D3E100A4 0E92A140
	v_mfma_f32_16x16x16_bf16 v[164:167], a[66:67], v[82:83], v[164:167]// 000000003B48: D3E100A4 0E92A542
	buffer_load_dwordx4 a[200:203], v30, s[20:23], 0 offen offset:2048// 000000003B50: E05C1800 8085C81E
	v_mfma_f32_16x16x16_bf16 v[164:167], a[68:69], v[84:85], v[164:167]// 000000003B58: D3E100A4 0E92A944
	s_add_u32 s16, s57, s16                                    // 000000003B60: 80101039
	s_addc_u32 s17, 0, s17                                     // 000000003B64: 82111180
	v_mfma_f32_16x16x16_bf16 v[164:167], a[70:71], v[86:87], v[164:167]// 000000003B68: D3E100A4 0E92AD46
	v_mfma_f32_16x16x16_bf16 v[164:167], a[72:73], v[88:89], v[164:167]// 000000003B70: D3E100A4 0E92B148
	v_mfma_f32_16x16x16_bf16 v[164:167], a[74:75], v[90:91], v[164:167]// 000000003B78: D3E100A4 0E92B54A
	buffer_load_dwordx4 a[204:207], v30, s[20:23], 0 offen offset:3072// 000000003B80: E05C1C00 8085CC1E
	v_mfma_f32_16x16x16_bf16 v[164:167], a[76:77], v[92:93], v[164:167]// 000000003B88: D3E100A4 0E92B94C
	v_mfma_f32_16x16x16_bf16 v[164:167], a[78:79], v[94:95], v[164:167]// 000000003B90: D3E100A4 0E92BD4E
	v_mfma_f32_16x16x16_bf16 v[168:171], a[80:81], v[64:65], v[168:171]// 000000003B98: D3E100A8 0EA28150
	v_mfma_f32_16x16x16_bf16 v[168:171], a[82:83], v[66:67], v[168:171]// 000000003BA0: D3E100A8 0EA28552
	buffer_load_dwordx4 a[208:211], v31, s[20:23], 0 offen     // 000000003BA8: E05C1000 8085D01F
	v_mfma_f32_16x16x16_bf16 v[168:171], a[84:85], v[68:69], v[168:171]// 000000003BB0: D3E100A8 0EA28954
	v_mfma_f32_16x16x16_bf16 v[168:171], a[86:87], v[70:71], v[168:171]// 000000003BB8: D3E100A8 0EA28D56
	v_mfma_f32_16x16x16_bf16 v[168:171], a[88:89], v[72:73], v[168:171]// 000000003BC0: D3E100A8 0EA29158
	v_mfma_f32_16x16x16_bf16 v[168:171], a[90:91], v[74:75], v[168:171]// 000000003BC8: D3E100A8 0EA2955A
	buffer_load_dwordx4 a[212:215], v31, s[20:23], 0 offen offset:1024// 000000003BD0: E05C1400 8085D41F
	v_mfma_f32_16x16x16_bf16 v[168:171], a[92:93], v[76:77], v[168:171]// 000000003BD8: D3E100A8 0EA2995C
	v_mfma_f32_16x16x16_bf16 v[168:171], a[94:95], v[78:79], v[168:171]// 000000003BE0: D3E100A8 0EA29D5E
	v_mfma_f32_16x16x16_bf16 v[172:175], a[80:81], v[80:81], v[172:175]// 000000003BE8: D3E100AC 0EB2A150
	v_mfma_f32_16x16x16_bf16 v[172:175], a[82:83], v[82:83], v[172:175]// 000000003BF0: D3E100AC 0EB2A552
	buffer_load_dwordx4 a[216:219], v31, s[20:23], 0 offen offset:2048// 000000003BF8: E05C1800 8085D81F
	v_mfma_f32_16x16x16_bf16 v[172:175], a[84:85], v[84:85], v[172:175]// 000000003C00: D3E100AC 0EB2A954
	v_mfma_f32_16x16x16_bf16 v[172:175], a[86:87], v[86:87], v[172:175]// 000000003C08: D3E100AC 0EB2AD56
	v_mfma_f32_16x16x16_bf16 v[172:175], a[88:89], v[88:89], v[172:175]// 000000003C10: D3E100AC 0EB2B158
	v_mfma_f32_16x16x16_bf16 v[172:175], a[90:91], v[90:91], v[172:175]// 000000003C18: D3E100AC 0EB2B55A
	buffer_load_dwordx4 a[220:223], v31, s[20:23], 0 offen offset:3072// 000000003C20: E05C1C00 8085DC1F
	v_mfma_f32_16x16x16_bf16 v[172:175], a[92:93], v[92:93], v[172:175]// 000000003C28: D3E100AC 0EB2B95C
	v_mfma_f32_16x16x16_bf16 v[172:175], a[94:95], v[94:95], v[172:175]// 000000003C30: D3E100AC 0EB2BD5E
	s_waitcnt vmcnt(32)                                        // 000000003C38: BF8C8F70
	v_mfma_f32_16x16x16_bf16 v[176:179], a[96:97], v[64:65], v[176:179]// 000000003C3C: D3E100B0 0EC28160
	v_mfma_f32_16x16x16_bf16 v[176:179], a[98:99], v[66:67], v[176:179]// 000000003C44: D3E100B0 0EC28562
	buffer_load_dwordx4 a[224:227], v32, s[20:23], 0 offen     // 000000003C4C: E05C1000 8085E020
	v_mfma_f32_16x16x16_bf16 v[176:179], a[100:101], v[68:69], v[176:179]// 000000003C54: D3E100B0 0EC28964
	v_mfma_f32_16x16x16_bf16 v[176:179], a[102:103], v[70:71], v[176:179]// 000000003C5C: D3E100B0 0EC28D66
	v_mfma_f32_16x16x16_bf16 v[176:179], a[104:105], v[72:73], v[176:179]// 000000003C64: D3E100B0 0EC29168
	v_mfma_f32_16x16x16_bf16 v[176:179], a[106:107], v[74:75], v[176:179]// 000000003C6C: D3E100B0 0EC2956A
	buffer_load_dwordx4 a[228:231], v32, s[20:23], 0 offen offset:1024// 000000003C74: E05C1400 8085E420
	v_mfma_f32_16x16x16_bf16 v[176:179], a[108:109], v[76:77], v[176:179]// 000000003C7C: D3E100B0 0EC2996C
	v_mfma_f32_16x16x16_bf16 v[176:179], a[110:111], v[78:79], v[176:179]// 000000003C84: D3E100B0 0EC29D6E
	v_mfma_f32_16x16x16_bf16 v[180:183], a[96:97], v[80:81], v[180:183]// 000000003C8C: D3E100B4 0ED2A160
	v_mfma_f32_16x16x16_bf16 v[180:183], a[98:99], v[82:83], v[180:183]// 000000003C94: D3E100B4 0ED2A562
	buffer_load_dwordx4 a[232:235], v32, s[20:23], 0 offen offset:2048// 000000003C9C: E05C1800 8085E820
	v_mfma_f32_16x16x16_bf16 v[180:183], a[100:101], v[84:85], v[180:183]// 000000003CA4: D3E100B4 0ED2A964
	v_mfma_f32_16x16x16_bf16 v[180:183], a[102:103], v[86:87], v[180:183]// 000000003CAC: D3E100B4 0ED2AD66
	v_mfma_f32_16x16x16_bf16 v[180:183], a[104:105], v[88:89], v[180:183]// 000000003CB4: D3E100B4 0ED2B168
	v_mfma_f32_16x16x16_bf16 v[180:183], a[106:107], v[90:91], v[180:183]// 000000003CBC: D3E100B4 0ED2B56A
	buffer_load_dwordx4 a[236:239], v32, s[20:23], 0 offen offset:3072// 000000003CC4: E05C1C00 8085EC20
	v_mfma_f32_16x16x16_bf16 v[180:183], a[108:109], v[92:93], v[180:183]// 000000003CCC: D3E100B4 0ED2B96C
	v_mfma_f32_16x16x16_bf16 v[180:183], a[110:111], v[94:95], v[180:183]// 000000003CD4: D3E100B4 0ED2BD6E
	v_mfma_f32_16x16x16_bf16 v[184:187], a[112:113], v[64:65], v[184:187]// 000000003CDC: D3E100B8 0EE28170
	v_mfma_f32_16x16x16_bf16 v[184:187], a[114:115], v[66:67], v[184:187]// 000000003CE4: D3E100B8 0EE28572
	buffer_load_dwordx4 a[240:243], v33, s[20:23], 0 offen     // 000000003CEC: E05C1000 8085F021
	v_mfma_f32_16x16x16_bf16 v[184:187], a[116:117], v[68:69], v[184:187]// 000000003CF4: D3E100B8 0EE28974
	v_mfma_f32_16x16x16_bf16 v[184:187], a[118:119], v[70:71], v[184:187]// 000000003CFC: D3E100B8 0EE28D76
	v_mfma_f32_16x16x16_bf16 v[184:187], a[120:121], v[72:73], v[184:187]// 000000003D04: D3E100B8 0EE29178
	v_mfma_f32_16x16x16_bf16 v[184:187], a[122:123], v[74:75], v[184:187]// 000000003D0C: D3E100B8 0EE2957A
	buffer_load_dwordx4 a[244:247], v33, s[20:23], 0 offen offset:1024// 000000003D14: E05C1400 8085F421
	v_mfma_f32_16x16x16_bf16 v[184:187], a[124:125], v[76:77], v[184:187]// 000000003D1C: D3E100B8 0EE2997C
	v_mfma_f32_16x16x16_bf16 v[184:187], a[126:127], v[78:79], v[184:187]// 000000003D24: D3E100B8 0EE29D7E
	v_mfma_f32_16x16x16_bf16 v[188:191], a[112:113], v[80:81], v[188:191]// 000000003D2C: D3E100BC 0EF2A170
	v_mfma_f32_16x16x16_bf16 v[188:191], a[114:115], v[82:83], v[188:191]// 000000003D34: D3E100BC 0EF2A572
	buffer_load_dwordx4 a[248:251], v33, s[20:23], 0 offen offset:2048// 000000003D3C: E05C1800 8085F821
	v_mfma_f32_16x16x16_bf16 v[188:191], a[116:117], v[84:85], v[188:191]// 000000003D44: D3E100BC 0EF2A974
	v_mfma_f32_16x16x16_bf16 v[188:191], a[118:119], v[86:87], v[188:191]// 000000003D4C: D3E100BC 0EF2AD76
	v_mfma_f32_16x16x16_bf16 v[188:191], a[120:121], v[88:89], v[188:191]// 000000003D54: D3E100BC 0EF2B178
	v_mfma_f32_16x16x16_bf16 v[188:191], a[122:123], v[90:91], v[188:191]// 000000003D5C: D3E100BC 0EF2B57A
	buffer_load_dwordx4 a[252:255], v33, s[20:23], 0 offen offset:3072// 000000003D64: E05C1C00 8085FC21
	v_mfma_f32_16x16x16_bf16 v[188:191], a[124:125], v[92:93], v[188:191]// 000000003D6C: D3E100BC 0EF2B97C
	s_add_u32 s20, s58, s20                                    // 000000003D74: 8014143A
	s_addc_u32 s21, 0, s21                                     // 000000003D78: 82151580
	v_mfma_f32_16x16x16_bf16 v[188:191], a[126:127], v[94:95], v[188:191]// 000000003D7C: D3E100BC 0EF2BD7E
	s_addk_i32 s80, 0x80                                       // 000000003D84: B7500080
	s_cmp_lt_i32 s80, s81                                      // 000000003D88: BF045150
	s_cbranch_scc0 label_0568                                  // 000000003D8C: BF840184
	s_waitcnt vmcnt(24) lgkmcnt(0)                             // 000000003D90: BF8C4078
	s_barrier                                                  // 000000003D94: BF8A0000
	v_mfma_f32_16x16x16_bf16 v[128:131], a[128:129], v[96:97], v[128:131]// 000000003D98: D3E10080 0E02C180
	v_mfma_f32_16x16x16_bf16 v[128:131], a[130:131], v[98:99], v[128:131]// 000000003DA0: D3E10080 0E02C582
	buffer_load_dwordx4 a[0:3], v26, s[20:23], 0 offen         // 000000003DA8: E05C1000 8085001A
	v_mfma_f32_16x16x16_bf16 v[128:131], a[132:133], v[100:101], v[128:131]// 000000003DB0: D3E10080 0E02C984
	v_mfma_f32_16x16x16_bf16 v[128:131], a[134:135], v[102:103], v[128:131]// 000000003DB8: D3E10080 0E02CD86
	buffer_load_dword v10, s[16:19], 0 offen lds               // 000000003DC0: E0511000 8004000A
	s_add_u32 m0, 0x100, s37                                   // 000000003DC8: 807C25FF 00000100
	v_mfma_f32_16x16x16_bf16 v[128:131], a[136:137], v[104:105], v[128:131]// 000000003DD0: D3E10080 0E02D188
	v_mfma_f32_16x16x16_bf16 v[128:131], a[138:139], v[106:107], v[128:131]// 000000003DD8: D3E10080 0E02D58A
	buffer_load_dwordx4 a[4:7], v26, s[20:23], 0 offen offset:1024// 000000003DE0: E05C1400 8085041A
	v_mfma_f32_16x16x16_bf16 v[128:131], a[140:141], v[108:109], v[128:131]// 000000003DE8: D3E10080 0E02D98C
	v_mfma_f32_16x16x16_bf16 v[128:131], a[142:143], v[110:111], v[128:131]// 000000003DF0: D3E10080 0E02DD8E
	buffer_load_dword v11, s[16:19], 0 offen lds               // 000000003DF8: E0511000 8004000B
	s_add_u32 m0, 0x200, s37                                   // 000000003E00: 807C25FF 00000200
	v_mfma_f32_16x16x16_bf16 v[132:135], a[128:129], v[112:113], v[132:135]// 000000003E08: D3E10084 0E12E180
	v_mfma_f32_16x16x16_bf16 v[132:135], a[130:131], v[114:115], v[132:135]// 000000003E10: D3E10084 0E12E582
	buffer_load_dwordx4 a[8:11], v26, s[20:23], 0 offen offset:2048// 000000003E18: E05C1800 8085081A
	v_mfma_f32_16x16x16_bf16 v[132:135], a[132:133], v[116:117], v[132:135]// 000000003E20: D3E10084 0E12E984
	v_mfma_f32_16x16x16_bf16 v[132:135], a[134:135], v[118:119], v[132:135]// 000000003E28: D3E10084 0E12ED86
	buffer_load_dword v12, s[16:19], 0 offen lds               // 000000003E30: E0511000 8004000C
	s_add_u32 m0, 0x300, s37                                   // 000000003E38: 807C25FF 00000300
	v_mfma_f32_16x16x16_bf16 v[132:135], a[136:137], v[120:121], v[132:135]// 000000003E40: D3E10084 0E12F188
	v_mfma_f32_16x16x16_bf16 v[132:135], a[138:139], v[122:123], v[132:135]// 000000003E48: D3E10084 0E12F58A
	buffer_load_dwordx4 a[12:15], v26, s[20:23], 0 offen offset:3072// 000000003E50: E05C1C00 80850C1A
	v_mfma_f32_16x16x16_bf16 v[132:135], a[140:141], v[124:125], v[132:135]// 000000003E58: D3E10084 0E12F98C
	v_mfma_f32_16x16x16_bf16 v[132:135], a[142:143], v[126:127], v[132:135]// 000000003E60: D3E10084 0E12FD8E
	buffer_load_dword v13, s[16:19], 0 offen lds               // 000000003E68: E0511000 8004000D
	s_add_u32 m0, 0x400, s37                                   // 000000003E70: 807C25FF 00000400
	v_mfma_f32_16x16x16_bf16 v[136:139], a[144:145], v[96:97], v[136:139]// 000000003E78: D3E10088 0E22C190
	v_mfma_f32_16x16x16_bf16 v[136:139], a[146:147], v[98:99], v[136:139]// 000000003E80: D3E10088 0E22C592
	buffer_load_dwordx4 a[16:19], v27, s[20:23], 0 offen       // 000000003E88: E05C1000 8085101B
	v_mfma_f32_16x16x16_bf16 v[136:139], a[148:149], v[100:101], v[136:139]// 000000003E90: D3E10088 0E22C994
	v_mfma_f32_16x16x16_bf16 v[136:139], a[150:151], v[102:103], v[136:139]// 000000003E98: D3E10088 0E22CD96
	buffer_load_dword v14, s[16:19], 0 offen lds               // 000000003EA0: E0511000 8004000E
	s_add_u32 m0, 0x500, s37                                   // 000000003EA8: 807C25FF 00000500
	v_mfma_f32_16x16x16_bf16 v[136:139], a[152:153], v[104:105], v[136:139]// 000000003EB0: D3E10088 0E22D198
	v_mfma_f32_16x16x16_bf16 v[136:139], a[154:155], v[106:107], v[136:139]// 000000003EB8: D3E10088 0E22D59A
	buffer_load_dwordx4 a[20:23], v27, s[20:23], 0 offen offset:1024// 000000003EC0: E05C1400 8085141B
	v_mfma_f32_16x16x16_bf16 v[136:139], a[156:157], v[108:109], v[136:139]// 000000003EC8: D3E10088 0E22D99C
	v_mfma_f32_16x16x16_bf16 v[136:139], a[158:159], v[110:111], v[136:139]// 000000003ED0: D3E10088 0E22DD9E
	buffer_load_dword v15, s[16:19], 0 offen lds               // 000000003ED8: E0511000 8004000F
	s_add_u32 m0, 0x600, s37                                   // 000000003EE0: 807C25FF 00000600
	v_mfma_f32_16x16x16_bf16 v[140:143], a[144:145], v[112:113], v[140:143]// 000000003EE8: D3E1008C 0E32E190
	v_mfma_f32_16x16x16_bf16 v[140:143], a[146:147], v[114:115], v[140:143]// 000000003EF0: D3E1008C 0E32E592
	buffer_load_dwordx4 a[24:27], v27, s[20:23], 0 offen offset:2048// 000000003EF8: E05C1800 8085181B
	v_mfma_f32_16x16x16_bf16 v[140:143], a[148:149], v[116:117], v[140:143]// 000000003F00: D3E1008C 0E32E994
	v_mfma_f32_16x16x16_bf16 v[140:143], a[150:151], v[118:119], v[140:143]// 000000003F08: D3E1008C 0E32ED96
	buffer_load_dword v16, s[16:19], 0 offen lds               // 000000003F10: E0511000 80040010
	s_add_u32 m0, 0x700, s37                                   // 000000003F18: 807C25FF 00000700
	v_mfma_f32_16x16x16_bf16 v[140:143], a[152:153], v[120:121], v[140:143]// 000000003F20: D3E1008C 0E32F198
	v_mfma_f32_16x16x16_bf16 v[140:143], a[154:155], v[122:123], v[140:143]// 000000003F28: D3E1008C 0E32F59A
	buffer_load_dwordx4 a[28:31], v27, s[20:23], 0 offen offset:3072// 000000003F30: E05C1C00 80851C1B
	v_mfma_f32_16x16x16_bf16 v[140:143], a[156:157], v[124:125], v[140:143]// 000000003F38: D3E1008C 0E32F99C
	v_mfma_f32_16x16x16_bf16 v[140:143], a[158:159], v[126:127], v[140:143]// 000000003F40: D3E1008C 0E32FD9E
	buffer_load_dword v17, s[16:19], 0 offen lds               // 000000003F48: E0511000 80040011
	s_add_u32 m0, 0, s36                                       // 000000003F50: 807C2480
	s_waitcnt vmcnt(32)                                        // 000000003F54: BF8C8F70
	v_mfma_f32_16x16x16_bf16 v[144:147], a[160:161], v[96:97], v[144:147]// 000000003F58: D3E10090 0E42C1A0
	v_mfma_f32_16x16x16_bf16 v[144:147], a[162:163], v[98:99], v[144:147]// 000000003F60: D3E10090 0E42C5A2
	buffer_load_dwordx4 a[32:35], v28, s[20:23], 0 offen       // 000000003F68: E05C1000 8085201C
	v_mfma_f32_16x16x16_bf16 v[144:147], a[164:165], v[100:101], v[144:147]// 000000003F70: D3E10090 0E42C9A4
	v_mfma_f32_16x16x16_bf16 v[144:147], a[166:167], v[102:103], v[144:147]// 000000003F78: D3E10090 0E42CDA6
	ds_read_b128 v[64:67], v2                                  // 000000003F80: D9FE0000 40000002
	v_mfma_f32_16x16x16_bf16 v[144:147], a[168:169], v[104:105], v[144:147]// 000000003F88: D3E10090 0E42D1A8
	v_mfma_f32_16x16x16_bf16 v[144:147], a[170:171], v[106:107], v[144:147]// 000000003F90: D3E10090 0E42D5AA
	buffer_load_dwordx4 a[36:39], v28, s[20:23], 0 offen offset:1024// 000000003F98: E05C1400 8085241C
	v_mfma_f32_16x16x16_bf16 v[144:147], a[172:173], v[108:109], v[144:147]// 000000003FA0: D3E10090 0E42D9AC
	v_mfma_f32_16x16x16_bf16 v[144:147], a[174:175], v[110:111], v[144:147]// 000000003FA8: D3E10090 0E42DDAE
	ds_read_b128 v[68:71], v2 offset:64                        // 000000003FB0: D9FE0040 44000002
	v_mfma_f32_16x16x16_bf16 v[148:151], a[160:161], v[112:113], v[148:151]// 000000003FB8: D3E10094 0E52E1A0
	v_mfma_f32_16x16x16_bf16 v[148:151], a[162:163], v[114:115], v[148:151]// 000000003FC0: D3E10094 0E52E5A2
	buffer_load_dwordx4 a[40:43], v28, s[20:23], 0 offen offset:2048// 000000003FC8: E05C1800 8085281C
	v_mfma_f32_16x16x16_bf16 v[148:151], a[164:165], v[116:117], v[148:151]// 000000003FD0: D3E10094 0E52E9A4
	v_mfma_f32_16x16x16_bf16 v[148:151], a[166:167], v[118:119], v[148:151]// 000000003FD8: D3E10094 0E52EDA6
	ds_read_b128 v[72:75], v2 offset:128                       // 000000003FE0: D9FE0080 48000002
	v_mfma_f32_16x16x16_bf16 v[148:151], a[168:169], v[120:121], v[148:151]// 000000003FE8: D3E10094 0E52F1A8
	v_mfma_f32_16x16x16_bf16 v[148:151], a[170:171], v[122:123], v[148:151]// 000000003FF0: D3E10094 0E52F5AA
	buffer_load_dwordx4 a[44:47], v28, s[20:23], 0 offen offset:3072// 000000003FF8: E05C1C00 80852C1C
	v_mfma_f32_16x16x16_bf16 v[148:151], a[172:173], v[124:125], v[148:151]// 000000004000: D3E10094 0E52F9AC
	v_mfma_f32_16x16x16_bf16 v[148:151], a[174:175], v[126:127], v[148:151]// 000000004008: D3E10094 0E52FDAE
	ds_read_b128 v[76:79], v2 offset:192                       // 000000004010: D9FE00C0 4C000002
	v_mfma_f32_16x16x16_bf16 v[152:155], a[176:177], v[96:97], v[152:155]// 000000004018: D3E10098 0E62C1B0
	v_mfma_f32_16x16x16_bf16 v[152:155], a[178:179], v[98:99], v[152:155]// 000000004020: D3E10098 0E62C5B2
	buffer_load_dwordx4 a[48:51], v29, s[20:23], 0 offen       // 000000004028: E05C1000 8085301D
	v_mfma_f32_16x16x16_bf16 v[152:155], a[180:181], v[100:101], v[152:155]// 000000004030: D3E10098 0E62C9B4
	v_mfma_f32_16x16x16_bf16 v[152:155], a[182:183], v[102:103], v[152:155]// 000000004038: D3E10098 0E62CDB6
	ds_read_b128 v[80:83], v2 offset:1024                      // 000000004040: D9FE0400 50000002
	v_mfma_f32_16x16x16_bf16 v[152:155], a[184:185], v[104:105], v[152:155]// 000000004048: D3E10098 0E62D1B8
	v_mfma_f32_16x16x16_bf16 v[152:155], a[186:187], v[106:107], v[152:155]// 000000004050: D3E10098 0E62D5BA
	buffer_load_dwordx4 a[52:55], v29, s[20:23], 0 offen offset:1024// 000000004058: E05C1400 8085341D
	v_mfma_f32_16x16x16_bf16 v[152:155], a[188:189], v[108:109], v[152:155]// 000000004060: D3E10098 0E62D9BC
	v_mfma_f32_16x16x16_bf16 v[152:155], a[190:191], v[110:111], v[152:155]// 000000004068: D3E10098 0E62DDBE
	ds_read_b128 v[84:87], v2 offset:1088                      // 000000004070: D9FE0440 54000002
	v_mfma_f32_16x16x16_bf16 v[156:159], a[176:177], v[112:113], v[156:159]// 000000004078: D3E1009C 0E72E1B0
	v_mfma_f32_16x16x16_bf16 v[156:159], a[178:179], v[114:115], v[156:159]// 000000004080: D3E1009C 0E72E5B2
	buffer_load_dwordx4 a[56:59], v29, s[20:23], 0 offen offset:2048// 000000004088: E05C1800 8085381D
	v_mfma_f32_16x16x16_bf16 v[156:159], a[180:181], v[116:117], v[156:159]// 000000004090: D3E1009C 0E72E9B4
	v_mfma_f32_16x16x16_bf16 v[156:159], a[182:183], v[118:119], v[156:159]// 000000004098: D3E1009C 0E72EDB6
	ds_read_b128 v[88:91], v2 offset:1152                      // 0000000040A0: D9FE0480 58000002
	v_mfma_f32_16x16x16_bf16 v[156:159], a[184:185], v[120:121], v[156:159]// 0000000040A8: D3E1009C 0E72F1B8
	v_mfma_f32_16x16x16_bf16 v[156:159], a[186:187], v[122:123], v[156:159]// 0000000040B0: D3E1009C 0E72F5BA
	buffer_load_dwordx4 a[60:63], v29, s[20:23], 0 offen offset:3072// 0000000040B8: E05C1C00 80853C1D
	v_mfma_f32_16x16x16_bf16 v[156:159], a[188:189], v[124:125], v[156:159]// 0000000040C0: D3E1009C 0E72F9BC
	v_mfma_f32_16x16x16_bf16 v[156:159], a[190:191], v[126:127], v[156:159]// 0000000040C8: D3E1009C 0E72FDBE
	ds_read_b128 v[92:95], v2 offset:1216                      // 0000000040D0: D9FE04C0 5C000002
	s_waitcnt vmcnt(32)                                        // 0000000040D8: BF8C8F70
	v_mfma_f32_16x16x16_bf16 v[160:163], a[192:193], v[96:97], v[160:163]// 0000000040DC: D3E100A0 0E82C1C0
	v_mfma_f32_16x16x16_bf16 v[160:163], a[194:195], v[98:99], v[160:163]// 0000000040E4: D3E100A0 0E82C5C2
	buffer_load_dwordx4 a[64:67], v30, s[20:23], 0 offen       // 0000000040EC: E05C1000 8085401E
	v_mfma_f32_16x16x16_bf16 v[160:163], a[196:197], v[100:101], v[160:163]// 0000000040F4: D3E100A0 0E82C9C4
	s_add_u32 s60, 0x180, s80                                  // 0000000040FC: 803C50FF 00000180
	s_cmp_lt_u32 s60, s81                                      // 000000004104: BF0A513C
	s_cselect_b32 s57, s57, 0                                  // 000000004108: 85398039
	v_mfma_f32_16x16x16_bf16 v[160:163], a[198:199], v[102:103], v[160:163]// 00000000410C: D3E100A0 0E82CDC6
	v_mfma_f32_16x16x16_bf16 v[160:163], a[200:201], v[104:105], v[160:163]// 000000004114: D3E100A0 0E82D1C8
	v_mfma_f32_16x16x16_bf16 v[160:163], a[202:203], v[106:107], v[160:163]// 00000000411C: D3E100A0 0E82D5CA
	buffer_load_dwordx4 a[68:71], v30, s[20:23], 0 offen offset:1024// 000000004124: E05C1400 8085441E
	v_mfma_f32_16x16x16_bf16 v[160:163], a[204:205], v[108:109], v[160:163]// 00000000412C: D3E100A0 0E82D9CC
	s_add_u32 s60, 0x100, s80                                  // 000000004134: 803C50FF 00000100
	s_cmp_lt_u32 s60, s81                                      // 00000000413C: BF0A513C
	s_cselect_b32 s58, s58, 0                                  // 000000004140: 853A803A
	v_mfma_f32_16x16x16_bf16 v[160:163], a[206:207], v[110:111], v[160:163]// 000000004144: D3E100A0 0E82DDCE
	v_mfma_f32_16x16x16_bf16 v[164:167], a[192:193], v[112:113], v[164:167]// 00000000414C: D3E100A4 0E92E1C0
	v_mfma_f32_16x16x16_bf16 v[164:167], a[194:195], v[114:115], v[164:167]// 000000004154: D3E100A4 0E92E5C2
	buffer_load_dwordx4 a[72:75], v30, s[20:23], 0 offen offset:2048// 00000000415C: E05C1800 8085481E
	v_mfma_f32_16x16x16_bf16 v[164:167], a[196:197], v[116:117], v[164:167]// 000000004164: D3E100A4 0E92E9C4
	s_add_u32 s16, s57, s16                                    // 00000000416C: 80101039
	s_addc_u32 s17, 0, s17                                     // 000000004170: 82111180
	v_mfma_f32_16x16x16_bf16 v[164:167], a[198:199], v[118:119], v[164:167]// 000000004174: D3E100A4 0E92EDC6
	v_mfma_f32_16x16x16_bf16 v[164:167], a[200:201], v[120:121], v[164:167]// 00000000417C: D3E100A4 0E92F1C8
	v_mfma_f32_16x16x16_bf16 v[164:167], a[202:203], v[122:123], v[164:167]// 000000004184: D3E100A4 0E92F5CA
	buffer_load_dwordx4 a[76:79], v30, s[20:23], 0 offen offset:3072// 00000000418C: E05C1C00 80854C1E
	v_mfma_f32_16x16x16_bf16 v[164:167], a[204:205], v[124:125], v[164:167]// 000000004194: D3E100A4 0E92F9CC
	v_mfma_f32_16x16x16_bf16 v[164:167], a[206:207], v[126:127], v[164:167]// 00000000419C: D3E100A4 0E92FDCE
	v_mfma_f32_16x16x16_bf16 v[168:171], a[208:209], v[96:97], v[168:171]// 0000000041A4: D3E100A8 0EA2C1D0
	v_mfma_f32_16x16x16_bf16 v[168:171], a[210:211], v[98:99], v[168:171]// 0000000041AC: D3E100A8 0EA2C5D2
	buffer_load_dwordx4 a[80:83], v31, s[20:23], 0 offen       // 0000000041B4: E05C1000 8085501F
	v_mfma_f32_16x16x16_bf16 v[168:171], a[212:213], v[100:101], v[168:171]// 0000000041BC: D3E100A8 0EA2C9D4
	v_mfma_f32_16x16x16_bf16 v[168:171], a[214:215], v[102:103], v[168:171]// 0000000041C4: D3E100A8 0EA2CDD6
	v_mfma_f32_16x16x16_bf16 v[168:171], a[216:217], v[104:105], v[168:171]// 0000000041CC: D3E100A8 0EA2D1D8
	v_mfma_f32_16x16x16_bf16 v[168:171], a[218:219], v[106:107], v[168:171]// 0000000041D4: D3E100A8 0EA2D5DA
	buffer_load_dwordx4 a[84:87], v31, s[20:23], 0 offen offset:1024// 0000000041DC: E05C1400 8085541F
	v_mfma_f32_16x16x16_bf16 v[168:171], a[220:221], v[108:109], v[168:171]// 0000000041E4: D3E100A8 0EA2D9DC
	v_mfma_f32_16x16x16_bf16 v[168:171], a[222:223], v[110:111], v[168:171]// 0000000041EC: D3E100A8 0EA2DDDE
	v_mfma_f32_16x16x16_bf16 v[172:175], a[208:209], v[112:113], v[172:175]// 0000000041F4: D3E100AC 0EB2E1D0
	v_mfma_f32_16x16x16_bf16 v[172:175], a[210:211], v[114:115], v[172:175]// 0000000041FC: D3E100AC 0EB2E5D2
	buffer_load_dwordx4 a[88:91], v31, s[20:23], 0 offen offset:2048// 000000004204: E05C1800 8085581F
	v_mfma_f32_16x16x16_bf16 v[172:175], a[212:213], v[116:117], v[172:175]// 00000000420C: D3E100AC 0EB2E9D4
	v_mfma_f32_16x16x16_bf16 v[172:175], a[214:215], v[118:119], v[172:175]// 000000004214: D3E100AC 0EB2EDD6
	v_mfma_f32_16x16x16_bf16 v[172:175], a[216:217], v[120:121], v[172:175]// 00000000421C: D3E100AC 0EB2F1D8
	v_mfma_f32_16x16x16_bf16 v[172:175], a[218:219], v[122:123], v[172:175]// 000000004224: D3E100AC 0EB2F5DA
	buffer_load_dwordx4 a[92:95], v31, s[20:23], 0 offen offset:3072// 00000000422C: E05C1C00 80855C1F
	v_mfma_f32_16x16x16_bf16 v[172:175], a[220:221], v[124:125], v[172:175]// 000000004234: D3E100AC 0EB2F9DC
	v_mfma_f32_16x16x16_bf16 v[172:175], a[222:223], v[126:127], v[172:175]// 00000000423C: D3E100AC 0EB2FDDE
	s_waitcnt vmcnt(32)                                        // 000000004244: BF8C8F70
	v_mfma_f32_16x16x16_bf16 v[176:179], a[224:225], v[96:97], v[176:179]// 000000004248: D3E100B0 0EC2C1E0
	v_mfma_f32_16x16x16_bf16 v[176:179], a[226:227], v[98:99], v[176:179]// 000000004250: D3E100B0 0EC2C5E2
	buffer_load_dwordx4 a[96:99], v32, s[20:23], 0 offen       // 000000004258: E05C1000 80856020
	v_mfma_f32_16x16x16_bf16 v[176:179], a[228:229], v[100:101], v[176:179]// 000000004260: D3E100B0 0EC2C9E4
	v_mfma_f32_16x16x16_bf16 v[176:179], a[230:231], v[102:103], v[176:179]// 000000004268: D3E100B0 0EC2CDE6
	v_mfma_f32_16x16x16_bf16 v[176:179], a[232:233], v[104:105], v[176:179]// 000000004270: D3E100B0 0EC2D1E8
	v_mfma_f32_16x16x16_bf16 v[176:179], a[234:235], v[106:107], v[176:179]// 000000004278: D3E100B0 0EC2D5EA
	buffer_load_dwordx4 a[100:103], v32, s[20:23], 0 offen offset:1024// 000000004280: E05C1400 80856420
	v_mfma_f32_16x16x16_bf16 v[176:179], a[236:237], v[108:109], v[176:179]// 000000004288: D3E100B0 0EC2D9EC
	v_mfma_f32_16x16x16_bf16 v[176:179], a[238:239], v[110:111], v[176:179]// 000000004290: D3E100B0 0EC2DDEE
	v_mfma_f32_16x16x16_bf16 v[180:183], a[224:225], v[112:113], v[180:183]// 000000004298: D3E100B4 0ED2E1E0
	v_mfma_f32_16x16x16_bf16 v[180:183], a[226:227], v[114:115], v[180:183]// 0000000042A0: D3E100B4 0ED2E5E2
	buffer_load_dwordx4 a[104:107], v32, s[20:23], 0 offen offset:2048// 0000000042A8: E05C1800 80856820
	v_mfma_f32_16x16x16_bf16 v[180:183], a[228:229], v[116:117], v[180:183]// 0000000042B0: D3E100B4 0ED2E9E4
	v_mfma_f32_16x16x16_bf16 v[180:183], a[230:231], v[118:119], v[180:183]// 0000000042B8: D3E100B4 0ED2EDE6
	v_mfma_f32_16x16x16_bf16 v[180:183], a[232:233], v[120:121], v[180:183]// 0000000042C0: D3E100B4 0ED2F1E8
	v_mfma_f32_16x16x16_bf16 v[180:183], a[234:235], v[122:123], v[180:183]// 0000000042C8: D3E100B4 0ED2F5EA
	buffer_load_dwordx4 a[108:111], v32, s[20:23], 0 offen offset:3072// 0000000042D0: E05C1C00 80856C20
	v_mfma_f32_16x16x16_bf16 v[180:183], a[236:237], v[124:125], v[180:183]// 0000000042D8: D3E100B4 0ED2F9EC
	v_mfma_f32_16x16x16_bf16 v[180:183], a[238:239], v[126:127], v[180:183]// 0000000042E0: D3E100B4 0ED2FDEE
	v_mfma_f32_16x16x16_bf16 v[184:187], a[240:241], v[96:97], v[184:187]// 0000000042E8: D3E100B8 0EE2C1F0
	v_mfma_f32_16x16x16_bf16 v[184:187], a[242:243], v[98:99], v[184:187]// 0000000042F0: D3E100B8 0EE2C5F2
	buffer_load_dwordx4 a[112:115], v33, s[20:23], 0 offen     // 0000000042F8: E05C1000 80857021
	v_mfma_f32_16x16x16_bf16 v[184:187], a[244:245], v[100:101], v[184:187]// 000000004300: D3E100B8 0EE2C9F4
	v_mfma_f32_16x16x16_bf16 v[184:187], a[246:247], v[102:103], v[184:187]// 000000004308: D3E100B8 0EE2CDF6
	v_mfma_f32_16x16x16_bf16 v[184:187], a[248:249], v[104:105], v[184:187]// 000000004310: D3E100B8 0EE2D1F8
	v_mfma_f32_16x16x16_bf16 v[184:187], a[250:251], v[106:107], v[184:187]// 000000004318: D3E100B8 0EE2D5FA
	buffer_load_dwordx4 a[116:119], v33, s[20:23], 0 offen offset:1024// 000000004320: E05C1400 80857421
	v_mfma_f32_16x16x16_bf16 v[184:187], a[252:253], v[108:109], v[184:187]// 000000004328: D3E100B8 0EE2D9FC
	v_mfma_f32_16x16x16_bf16 v[184:187], a[254:255], v[110:111], v[184:187]// 000000004330: D3E100B8 0EE2DDFE
	v_mfma_f32_16x16x16_bf16 v[188:191], a[240:241], v[112:113], v[188:191]// 000000004338: D3E100BC 0EF2E1F0
	v_mfma_f32_16x16x16_bf16 v[188:191], a[242:243], v[114:115], v[188:191]// 000000004340: D3E100BC 0EF2E5F2
	buffer_load_dwordx4 a[120:123], v33, s[20:23], 0 offen offset:2048// 000000004348: E05C1800 80857821
	v_mfma_f32_16x16x16_bf16 v[188:191], a[244:245], v[116:117], v[188:191]// 000000004350: D3E100BC 0EF2E9F4
	v_mfma_f32_16x16x16_bf16 v[188:191], a[246:247], v[118:119], v[188:191]// 000000004358: D3E100BC 0EF2EDF6
	v_mfma_f32_16x16x16_bf16 v[188:191], a[248:249], v[120:121], v[188:191]// 000000004360: D3E100BC 0EF2F1F8
	v_mfma_f32_16x16x16_bf16 v[188:191], a[250:251], v[122:123], v[188:191]// 000000004368: D3E100BC 0EF2F5FA
	buffer_load_dwordx4 a[124:127], v33, s[20:23], 0 offen offset:3072// 000000004370: E05C1C00 80857C21
	v_mfma_f32_16x16x16_bf16 v[188:191], a[252:253], v[124:125], v[188:191]// 000000004378: D3E100BC 0EF2F9FC
	s_add_u32 s20, s58, s20                                    // 000000004380: 8014143A
	s_addc_u32 s21, 0, s21                                     // 000000004384: 82151580
	v_mfma_f32_16x16x16_bf16 v[188:191], a[254:255], v[126:127], v[188:191]// 000000004388: D3E100BC 0EF2FDFE
	s_addk_i32 s80, 0x80                                       // 000000004390: B7500080
	s_cmp_lt_i32 s80, s81                                      // 000000004394: BF045150
	s_cbranch_scc0 label_0568                                  // 000000004398: BF840001
	s_branch label_0261                                        // 00000000439C: BF82FCF9

00000000000043a0 <label_0568>:
	s_mov_b32 s38, -1                                          // 0000000043A0: BEA600C1
	s_mov_b32 s39, -1                                          // 0000000043A4: BEA700C1
	s_mov_b64 s[60:61], 0                                      // 0000000043A8: BEBC0180
	s_cmp_lt_u32 s82, s66                                      // 0000000043AC: BF0A4252
	s_cselect_b64 s[16:17], s[38:39], s[60:61]                 // 0000000043B0: 85903C26
	s_cmp_lt_u32 s83, s66                                      // 0000000043B4: BF0A4253
	s_cselect_b64 s[18:19], s[38:39], s[60:61]                 // 0000000043B8: 85923C26
	s_cmp_lt_u32 s84, s66                                      // 0000000043BC: BF0A4254
	s_cselect_b64 s[20:21], s[38:39], s[60:61]                 // 0000000043C0: 85943C26
	s_cmp_lt_u32 s85, s66                                      // 0000000043C4: BF0A4255
	s_cselect_b64 s[22:23], s[38:39], s[60:61]                 // 0000000043C8: 85963C26
	s_cmp_lt_u32 s86, s66                                      // 0000000043CC: BF0A4256
	s_cselect_b64 s[24:25], s[38:39], s[60:61]                 // 0000000043D0: 85983C26
	s_cmp_lt_u32 s87, s66                                      // 0000000043D4: BF0A4257
	s_cselect_b64 s[26:27], s[38:39], s[60:61]                 // 0000000043D8: 859A3C26
	s_cmp_lt_u32 s88, s66                                      // 0000000043DC: BF0A4258
	s_cselect_b64 s[28:29], s[38:39], s[60:61]                 // 0000000043E0: 859C3C26
	s_cmp_lt_u32 s89, s66                                      // 0000000043E4: BF0A4259
	s_cselect_b64 s[30:31], s[38:39], s[60:61]                 // 0000000043E8: 859E3C26
	s_waitcnt vmcnt(24)                                        // 0000000043EC: BF8C4F78
	buffer_load_dwordx4 a[0:3], v18, s[12:15], 0 offen         // 0000000043F0: E05C1000 80830012
	v_mul_f32_e32 v54, v128, v128                              // 0000000043F8: 0A6D0180
	v_mul_f32_e32 v55, v129, v129                              // 0000000043FC: 0A6F0381
	v_mul_f32_e32 v56, v130, v130                              // 000000004400: 0A710582
	v_mul_f32_e32 v57, v131, v131                              // 000000004404: 0A730783
	v_fma_f32 v54, v54, s77, v5                                // 000000004408: D1CB0036 04149B36
	v_fma_f32 v55, v55, s77, v5                                // 000000004410: D1CB0037 04149B37
	v_fma_f32 v56, v56, s77, v5                                // 000000004418: D1CB0038 04149B38
	v_fma_f32 v57, v57, s77, v5                                // 000000004420: D1CB0039 04149B39
	v_mul_f32_e32 v54, v54, v128                               // 000000004428: 0A6D0136
	v_mul_f32_e32 v55, v55, v129                               // 00000000442C: 0A6F0337
	v_mul_f32_e32 v56, v56, v130                               // 000000004430: 0A710538
	v_mul_f32_e32 v57, v57, v131                               // 000000004434: 0A730739
	v_mul_f32_e64 v54, v54, s6                                 // 000000004438: D1050036 00000D36
	v_mul_f32_e64 v55, v55, s6                                 // 000000004440: D1050037 00000D37
	v_mul_f32_e64 v56, v56, s6                                 // 000000004448: D1050038 00000D38
	v_mul_f32_e64 v57, v57, s6                                 // 000000004450: D1050039 00000D39
	v_exp_f32_e32 v54, v54                                     // 000000004458: 7E6C4136
	v_exp_f32_e32 v55, v55                                     // 00000000445C: 7E6E4137
	v_exp_f32_e32 v56, v56                                     // 000000004460: 7E704138
	v_exp_f32_e32 v57, v57                                     // 000000004464: 7E724139
	buffer_load_dwordx4 a[4:7], v18, s[12:15], 0 offen offset:1024// 000000004468: E05C1400 80830412
	v_add_f32_e64 v54, v54, 1.0                                // 000000004470: D1010036 0001E536
	v_add_f32_e64 v55, v55, 1.0                                // 000000004478: D1010037 0001E537
	v_add_f32_e64 v56, v56, 1.0                                // 000000004480: D1010038 0001E538
	v_add_f32_e64 v57, v57, 1.0                                // 000000004488: D1010039 0001E539
	v_rcp_f32_e32 v54, v54                                     // 000000004490: 7E6C4536
	v_rcp_f32_e32 v55, v55                                     // 000000004494: 7E6E4537
	v_rcp_f32_e32 v56, v56                                     // 000000004498: 7E704538
	v_rcp_f32_e32 v57, v57                                     // 00000000449C: 7E724539
	v_mul_f32_e32 v128, v128, v54                              // 0000000044A0: 0B006D80
	v_mul_f32_e32 v129, v129, v55                              // 0000000044A4: 0B026F81
	v_mul_f32_e32 v130, v130, v56                              // 0000000044A8: 0B047182
	v_mul_f32_e32 v131, v131, v57                              // 0000000044AC: 0B067383
	buffer_load_dwordx4 a[8:11], v18, s[12:15], 0 offen offset:2048// 0000000044B0: E05C1800 80830812
	v_mul_f32_e32 v54, v132, v132                              // 0000000044B8: 0A6D0984
	v_mul_f32_e32 v55, v133, v133                              // 0000000044BC: 0A6F0B85
	v_mul_f32_e32 v56, v134, v134                              // 0000000044C0: 0A710D86
	v_mul_f32_e32 v57, v135, v135                              // 0000000044C4: 0A730F87
	v_fma_f32 v54, v54, s77, v5                                // 0000000044C8: D1CB0036 04149B36
	v_fma_f32 v55, v55, s77, v5                                // 0000000044D0: D1CB0037 04149B37
	v_fma_f32 v56, v56, s77, v5                                // 0000000044D8: D1CB0038 04149B38
	v_fma_f32 v57, v57, s77, v5                                // 0000000044E0: D1CB0039 04149B39
	v_mul_f32_e32 v54, v54, v132                               // 0000000044E8: 0A6D0936
	v_mul_f32_e32 v55, v55, v133                               // 0000000044EC: 0A6F0B37
	v_mul_f32_e32 v56, v56, v134                               // 0000000044F0: 0A710D38
	v_mul_f32_e32 v57, v57, v135                               // 0000000044F4: 0A730F39
	v_mul_f32_e64 v54, v54, s6                                 // 0000000044F8: D1050036 00000D36
	v_mul_f32_e64 v55, v55, s6                                 // 000000004500: D1050037 00000D37
	v_mul_f32_e64 v56, v56, s6                                 // 000000004508: D1050038 00000D38
	v_mul_f32_e64 v57, v57, s6                                 // 000000004510: D1050039 00000D39
	v_exp_f32_e32 v54, v54                                     // 000000004518: 7E6C4136
	v_exp_f32_e32 v55, v55                                     // 00000000451C: 7E6E4137
	v_exp_f32_e32 v56, v56                                     // 000000004520: 7E704138
	v_exp_f32_e32 v57, v57                                     // 000000004524: 7E724139
	buffer_load_dwordx4 a[12:15], v18, s[12:15], 0 offen offset:3072// 000000004528: E05C1C00 80830C12
	v_add_f32_e64 v54, v54, 1.0                                // 000000004530: D1010036 0001E536
	v_add_f32_e64 v55, v55, 1.0                                // 000000004538: D1010037 0001E537
	v_add_f32_e64 v56, v56, 1.0                                // 000000004540: D1010038 0001E538
	v_add_f32_e64 v57, v57, 1.0                                // 000000004548: D1010039 0001E539
	v_rcp_f32_e32 v54, v54                                     // 000000004550: 7E6C4536
	v_rcp_f32_e32 v55, v55                                     // 000000004554: 7E6E4537
	v_rcp_f32_e32 v56, v56                                     // 000000004558: 7E704538
	v_rcp_f32_e32 v57, v57                                     // 00000000455C: 7E724539
	v_mul_f32_e32 v132, v132, v54                              // 000000004560: 0B086D84
	v_mul_f32_e32 v133, v133, v55                              // 000000004564: 0B0A6F85
	v_mul_f32_e32 v134, v134, v56                              // 000000004568: 0B0C7186
	v_mul_f32_e32 v135, v135, v57                              // 00000000456C: 0B0E7387
	buffer_load_dwordx4 a[16:19], v19, s[12:15], 0 offen       // 000000004570: E05C1000 80831013
	v_mul_f32_e32 v54, v136, v136                              // 000000004578: 0A6D1188
	v_mul_f32_e32 v55, v137, v137                              // 00000000457C: 0A6F1389
	v_mul_f32_e32 v56, v138, v138                              // 000000004580: 0A71158A
	v_mul_f32_e32 v57, v139, v139                              // 000000004584: 0A73178B
	v_fma_f32 v54, v54, s77, v5                                // 000000004588: D1CB0036 04149B36
	v_fma_f32 v55, v55, s77, v5                                // 000000004590: D1CB0037 04149B37
	v_fma_f32 v56, v56, s77, v5                                // 000000004598: D1CB0038 04149B38
	v_fma_f32 v57, v57, s77, v5                                // 0000000045A0: D1CB0039 04149B39
	v_mul_f32_e32 v54, v54, v136                               // 0000000045A8: 0A6D1136
	v_mul_f32_e32 v55, v55, v137                               // 0000000045AC: 0A6F1337
	v_mul_f32_e32 v56, v56, v138                               // 0000000045B0: 0A711538
	v_mul_f32_e32 v57, v57, v139                               // 0000000045B4: 0A731739
	v_mul_f32_e64 v54, v54, s6                                 // 0000000045B8: D1050036 00000D36
	v_mul_f32_e64 v55, v55, s6                                 // 0000000045C0: D1050037 00000D37
	v_mul_f32_e64 v56, v56, s6                                 // 0000000045C8: D1050038 00000D38
	v_mul_f32_e64 v57, v57, s6                                 // 0000000045D0: D1050039 00000D39
	v_exp_f32_e32 v54, v54                                     // 0000000045D8: 7E6C4136
	v_exp_f32_e32 v55, v55                                     // 0000000045DC: 7E6E4137
	v_exp_f32_e32 v56, v56                                     // 0000000045E0: 7E704138
	v_exp_f32_e32 v57, v57                                     // 0000000045E4: 7E724139
	buffer_load_dwordx4 a[20:23], v19, s[12:15], 0 offen offset:1024// 0000000045E8: E05C1400 80831413
	v_add_f32_e64 v54, v54, 1.0                                // 0000000045F0: D1010036 0001E536
	v_add_f32_e64 v55, v55, 1.0                                // 0000000045F8: D1010037 0001E537
	v_add_f32_e64 v56, v56, 1.0                                // 000000004600: D1010038 0001E538
	v_add_f32_e64 v57, v57, 1.0                                // 000000004608: D1010039 0001E539
	v_rcp_f32_e32 v54, v54                                     // 000000004610: 7E6C4536
	v_rcp_f32_e32 v55, v55                                     // 000000004614: 7E6E4537
	v_rcp_f32_e32 v56, v56                                     // 000000004618: 7E704538
	v_rcp_f32_e32 v57, v57                                     // 00000000461C: 7E724539
	v_mul_f32_e32 v136, v136, v54                              // 000000004620: 0B106D88
	v_mul_f32_e32 v137, v137, v55                              // 000000004624: 0B126F89
	v_mul_f32_e32 v138, v138, v56                              // 000000004628: 0B14718A
	v_mul_f32_e32 v139, v139, v57                              // 00000000462C: 0B16738B
	buffer_load_dwordx4 a[24:27], v19, s[12:15], 0 offen offset:2048// 000000004630: E05C1800 80831813
	v_mul_f32_e32 v54, v140, v140                              // 000000004638: 0A6D198C
	v_mul_f32_e32 v55, v141, v141                              // 00000000463C: 0A6F1B8D
	v_mul_f32_e32 v56, v142, v142                              // 000000004640: 0A711D8E
	v_mul_f32_e32 v57, v143, v143                              // 000000004644: 0A731F8F
	v_fma_f32 v54, v54, s77, v5                                // 000000004648: D1CB0036 04149B36
	v_fma_f32 v55, v55, s77, v5                                // 000000004650: D1CB0037 04149B37
	v_fma_f32 v56, v56, s77, v5                                // 000000004658: D1CB0038 04149B38
	v_fma_f32 v57, v57, s77, v5                                // 000000004660: D1CB0039 04149B39
	v_mul_f32_e32 v54, v54, v140                               // 000000004668: 0A6D1936
	v_mul_f32_e32 v55, v55, v141                               // 00000000466C: 0A6F1B37
	v_mul_f32_e32 v56, v56, v142                               // 000000004670: 0A711D38
	v_mul_f32_e32 v57, v57, v143                               // 000000004674: 0A731F39
	v_mul_f32_e64 v54, v54, s6                                 // 000000004678: D1050036 00000D36
	v_mul_f32_e64 v55, v55, s6                                 // 000000004680: D1050037 00000D37
	v_mul_f32_e64 v56, v56, s6                                 // 000000004688: D1050038 00000D38
	v_mul_f32_e64 v57, v57, s6                                 // 000000004690: D1050039 00000D39
	v_exp_f32_e32 v54, v54                                     // 000000004698: 7E6C4136
	v_exp_f32_e32 v55, v55                                     // 00000000469C: 7E6E4137
	v_exp_f32_e32 v56, v56                                     // 0000000046A0: 7E704138
	v_exp_f32_e32 v57, v57                                     // 0000000046A4: 7E724139
	buffer_load_dwordx4 a[28:31], v19, s[12:15], 0 offen offset:3072// 0000000046A8: E05C1C00 80831C13
	v_add_f32_e64 v54, v54, 1.0                                // 0000000046B0: D1010036 0001E536
	v_add_f32_e64 v55, v55, 1.0                                // 0000000046B8: D1010037 0001E537
	v_add_f32_e64 v56, v56, 1.0                                // 0000000046C0: D1010038 0001E538
	v_add_f32_e64 v57, v57, 1.0                                // 0000000046C8: D1010039 0001E539
	v_rcp_f32_e32 v54, v54                                     // 0000000046D0: 7E6C4536
	v_rcp_f32_e32 v55, v55                                     // 0000000046D4: 7E6E4537
	v_rcp_f32_e32 v56, v56                                     // 0000000046D8: 7E704538
	v_rcp_f32_e32 v57, v57                                     // 0000000046DC: 7E724539
	v_mul_f32_e32 v140, v140, v54                              // 0000000046E0: 0B186D8C
	v_mul_f32_e32 v141, v141, v55                              // 0000000046E4: 0B1A6F8D
	v_mul_f32_e32 v142, v142, v56                              // 0000000046E8: 0B1C718E
	v_mul_f32_e32 v143, v143, v57                              // 0000000046EC: 0B1E738F
	s_waitcnt vmcnt(24)                                        // 0000000046F0: BF8C4F78
	buffer_load_dwordx4 a[32:35], v20, s[12:15], 0 offen       // 0000000046F4: E05C1000 80832014
	v_mul_f32_e32 v54, v144, v144                              // 0000000046FC: 0A6D2190
	v_mul_f32_e32 v55, v145, v145                              // 000000004700: 0A6F2391
	v_mul_f32_e32 v56, v146, v146                              // 000000004704: 0A712592
	v_mul_f32_e32 v57, v147, v147                              // 000000004708: 0A732793
	v_fma_f32 v54, v54, s77, v5                                // 00000000470C: D1CB0036 04149B36
	v_fma_f32 v55, v55, s77, v5                                // 000000004714: D1CB0037 04149B37
	v_fma_f32 v56, v56, s77, v5                                // 00000000471C: D1CB0038 04149B38
	v_fma_f32 v57, v57, s77, v5                                // 000000004724: D1CB0039 04149B39
	v_mul_f32_e32 v54, v54, v144                               // 00000000472C: 0A6D2136
	v_mul_f32_e32 v55, v55, v145                               // 000000004730: 0A6F2337
	v_mul_f32_e32 v56, v56, v146                               // 000000004734: 0A712538
	v_mul_f32_e32 v57, v57, v147                               // 000000004738: 0A732739
	v_mul_f32_e64 v54, v54, s6                                 // 00000000473C: D1050036 00000D36
	v_mul_f32_e64 v55, v55, s6                                 // 000000004744: D1050037 00000D37
	v_mul_f32_e64 v56, v56, s6                                 // 00000000474C: D1050038 00000D38
	v_mul_f32_e64 v57, v57, s6                                 // 000000004754: D1050039 00000D39
	v_exp_f32_e32 v54, v54                                     // 00000000475C: 7E6C4136
	v_exp_f32_e32 v55, v55                                     // 000000004760: 7E6E4137
	v_exp_f32_e32 v56, v56                                     // 000000004764: 7E704138
	v_exp_f32_e32 v57, v57                                     // 000000004768: 7E724139
	buffer_load_dwordx4 a[36:39], v20, s[12:15], 0 offen offset:1024// 00000000476C: E05C1400 80832414
	v_add_f32_e64 v54, v54, 1.0                                // 000000004774: D1010036 0001E536
	v_add_f32_e64 v55, v55, 1.0                                // 00000000477C: D1010037 0001E537
	v_add_f32_e64 v56, v56, 1.0                                // 000000004784: D1010038 0001E538
	v_add_f32_e64 v57, v57, 1.0                                // 00000000478C: D1010039 0001E539
	v_rcp_f32_e32 v54, v54                                     // 000000004794: 7E6C4536
	v_rcp_f32_e32 v55, v55                                     // 000000004798: 7E6E4537
	v_rcp_f32_e32 v56, v56                                     // 00000000479C: 7E704538
	v_rcp_f32_e32 v57, v57                                     // 0000000047A0: 7E724539
	v_mul_f32_e32 v144, v144, v54                              // 0000000047A4: 0B206D90
	v_mul_f32_e32 v145, v145, v55                              // 0000000047A8: 0B226F91
	v_mul_f32_e32 v146, v146, v56                              // 0000000047AC: 0B247192
	v_mul_f32_e32 v147, v147, v57                              // 0000000047B0: 0B267393
	buffer_load_dwordx4 a[40:43], v20, s[12:15], 0 offen offset:2048// 0000000047B4: E05C1800 80832814
	v_mul_f32_e32 v54, v148, v148                              // 0000000047BC: 0A6D2994
	v_mul_f32_e32 v55, v149, v149                              // 0000000047C0: 0A6F2B95
	v_mul_f32_e32 v56, v150, v150                              // 0000000047C4: 0A712D96
	v_mul_f32_e32 v57, v151, v151                              // 0000000047C8: 0A732F97
	v_fma_f32 v54, v54, s77, v5                                // 0000000047CC: D1CB0036 04149B36
	v_fma_f32 v55, v55, s77, v5                                // 0000000047D4: D1CB0037 04149B37
	v_fma_f32 v56, v56, s77, v5                                // 0000000047DC: D1CB0038 04149B38
	v_fma_f32 v57, v57, s77, v5                                // 0000000047E4: D1CB0039 04149B39
	v_mul_f32_e32 v54, v54, v148                               // 0000000047EC: 0A6D2936
	v_mul_f32_e32 v55, v55, v149                               // 0000000047F0: 0A6F2B37
	v_mul_f32_e32 v56, v56, v150                               // 0000000047F4: 0A712D38
	v_mul_f32_e32 v57, v57, v151                               // 0000000047F8: 0A732F39
	v_mul_f32_e64 v54, v54, s6                                 // 0000000047FC: D1050036 00000D36
	v_mul_f32_e64 v55, v55, s6                                 // 000000004804: D1050037 00000D37
	v_mul_f32_e64 v56, v56, s6                                 // 00000000480C: D1050038 00000D38
	v_mul_f32_e64 v57, v57, s6                                 // 000000004814: D1050039 00000D39
	v_exp_f32_e32 v54, v54                                     // 00000000481C: 7E6C4136
	v_exp_f32_e32 v55, v55                                     // 000000004820: 7E6E4137
	v_exp_f32_e32 v56, v56                                     // 000000004824: 7E704138
	v_exp_f32_e32 v57, v57                                     // 000000004828: 7E724139
	buffer_load_dwordx4 a[44:47], v20, s[12:15], 0 offen offset:3072// 00000000482C: E05C1C00 80832C14
	v_add_f32_e64 v54, v54, 1.0                                // 000000004834: D1010036 0001E536
	v_add_f32_e64 v55, v55, 1.0                                // 00000000483C: D1010037 0001E537
	v_add_f32_e64 v56, v56, 1.0                                // 000000004844: D1010038 0001E538
	v_add_f32_e64 v57, v57, 1.0                                // 00000000484C: D1010039 0001E539
	v_rcp_f32_e32 v54, v54                                     // 000000004854: 7E6C4536
	v_rcp_f32_e32 v55, v55                                     // 000000004858: 7E6E4537
	v_rcp_f32_e32 v56, v56                                     // 00000000485C: 7E704538
	v_rcp_f32_e32 v57, v57                                     // 000000004860: 7E724539
	v_mul_f32_e32 v148, v148, v54                              // 000000004864: 0B286D94
	v_mul_f32_e32 v149, v149, v55                              // 000000004868: 0B2A6F95
	v_mul_f32_e32 v150, v150, v56                              // 00000000486C: 0B2C7196
	v_mul_f32_e32 v151, v151, v57                              // 000000004870: 0B2E7397
	buffer_load_dwordx4 a[48:51], v21, s[12:15], 0 offen       // 000000004874: E05C1000 80833015
	v_mul_f32_e32 v54, v152, v152                              // 00000000487C: 0A6D3198
	v_mul_f32_e32 v55, v153, v153                              // 000000004880: 0A6F3399
	v_mul_f32_e32 v56, v154, v154                              // 000000004884: 0A71359A
	v_mul_f32_e32 v57, v155, v155                              // 000000004888: 0A73379B
	v_fma_f32 v54, v54, s77, v5                                // 00000000488C: D1CB0036 04149B36
	v_fma_f32 v55, v55, s77, v5                                // 000000004894: D1CB0037 04149B37
	v_fma_f32 v56, v56, s77, v5                                // 00000000489C: D1CB0038 04149B38
	v_fma_f32 v57, v57, s77, v5                                // 0000000048A4: D1CB0039 04149B39
	v_mul_f32_e32 v54, v54, v152                               // 0000000048AC: 0A6D3136
	v_mul_f32_e32 v55, v55, v153                               // 0000000048B0: 0A6F3337
	v_mul_f32_e32 v56, v56, v154                               // 0000000048B4: 0A713538
	v_mul_f32_e32 v57, v57, v155                               // 0000000048B8: 0A733739
	v_mul_f32_e64 v54, v54, s6                                 // 0000000048BC: D1050036 00000D36
	v_mul_f32_e64 v55, v55, s6                                 // 0000000048C4: D1050037 00000D37
	v_mul_f32_e64 v56, v56, s6                                 // 0000000048CC: D1050038 00000D38
	v_mul_f32_e64 v57, v57, s6                                 // 0000000048D4: D1050039 00000D39
	v_exp_f32_e32 v54, v54                                     // 0000000048DC: 7E6C4136
	v_exp_f32_e32 v55, v55                                     // 0000000048E0: 7E6E4137
	v_exp_f32_e32 v56, v56                                     // 0000000048E4: 7E704138
	v_exp_f32_e32 v57, v57                                     // 0000000048E8: 7E724139
	buffer_load_dwordx4 a[52:55], v21, s[12:15], 0 offen offset:1024// 0000000048EC: E05C1400 80833415
	v_add_f32_e64 v54, v54, 1.0                                // 0000000048F4: D1010036 0001E536
	v_add_f32_e64 v55, v55, 1.0                                // 0000000048FC: D1010037 0001E537
	v_add_f32_e64 v56, v56, 1.0                                // 000000004904: D1010038 0001E538
	v_add_f32_e64 v57, v57, 1.0                                // 00000000490C: D1010039 0001E539
	v_rcp_f32_e32 v54, v54                                     // 000000004914: 7E6C4536
	v_rcp_f32_e32 v55, v55                                     // 000000004918: 7E6E4537
	v_rcp_f32_e32 v56, v56                                     // 00000000491C: 7E704538
	v_rcp_f32_e32 v57, v57                                     // 000000004920: 7E724539
	v_mul_f32_e32 v152, v152, v54                              // 000000004924: 0B306D98
	v_mul_f32_e32 v153, v153, v55                              // 000000004928: 0B326F99
	v_mul_f32_e32 v154, v154, v56                              // 00000000492C: 0B34719A
	v_mul_f32_e32 v155, v155, v57                              // 000000004930: 0B36739B
	buffer_load_dwordx4 a[56:59], v21, s[12:15], 0 offen offset:2048// 000000004934: E05C1800 80833815
	v_mul_f32_e32 v54, v156, v156                              // 00000000493C: 0A6D399C
	v_mul_f32_e32 v55, v157, v157                              // 000000004940: 0A6F3B9D
	v_mul_f32_e32 v56, v158, v158                              // 000000004944: 0A713D9E
	v_mul_f32_e32 v57, v159, v159                              // 000000004948: 0A733F9F
	v_fma_f32 v54, v54, s77, v5                                // 00000000494C: D1CB0036 04149B36
	v_fma_f32 v55, v55, s77, v5                                // 000000004954: D1CB0037 04149B37
	v_fma_f32 v56, v56, s77, v5                                // 00000000495C: D1CB0038 04149B38
	v_fma_f32 v57, v57, s77, v5                                // 000000004964: D1CB0039 04149B39
	v_mul_f32_e32 v54, v54, v156                               // 00000000496C: 0A6D3936
	v_mul_f32_e32 v55, v55, v157                               // 000000004970: 0A6F3B37
	v_mul_f32_e32 v56, v56, v158                               // 000000004974: 0A713D38
	v_mul_f32_e32 v57, v57, v159                               // 000000004978: 0A733F39
	v_mul_f32_e64 v54, v54, s6                                 // 00000000497C: D1050036 00000D36
	v_mul_f32_e64 v55, v55, s6                                 // 000000004984: D1050037 00000D37
	v_mul_f32_e64 v56, v56, s6                                 // 00000000498C: D1050038 00000D38
	v_mul_f32_e64 v57, v57, s6                                 // 000000004994: D1050039 00000D39
	v_exp_f32_e32 v54, v54                                     // 00000000499C: 7E6C4136
	v_exp_f32_e32 v55, v55                                     // 0000000049A0: 7E6E4137
	v_exp_f32_e32 v56, v56                                     // 0000000049A4: 7E704138
	v_exp_f32_e32 v57, v57                                     // 0000000049A8: 7E724139
	buffer_load_dwordx4 a[60:63], v21, s[12:15], 0 offen offset:3072// 0000000049AC: E05C1C00 80833C15
	v_add_f32_e64 v54, v54, 1.0                                // 0000000049B4: D1010036 0001E536
	v_add_f32_e64 v55, v55, 1.0                                // 0000000049BC: D1010037 0001E537
	v_add_f32_e64 v56, v56, 1.0                                // 0000000049C4: D1010038 0001E538
	v_add_f32_e64 v57, v57, 1.0                                // 0000000049CC: D1010039 0001E539
	v_rcp_f32_e32 v54, v54                                     // 0000000049D4: 7E6C4536
	v_rcp_f32_e32 v55, v55                                     // 0000000049D8: 7E6E4537
	v_rcp_f32_e32 v56, v56                                     // 0000000049DC: 7E704538
	v_rcp_f32_e32 v57, v57                                     // 0000000049E0: 7E724539
	v_mul_f32_e32 v156, v156, v54                              // 0000000049E4: 0B386D9C
	v_mul_f32_e32 v157, v157, v55                              // 0000000049E8: 0B3A6F9D
	v_mul_f32_e32 v158, v158, v56                              // 0000000049EC: 0B3C719E
	v_mul_f32_e32 v159, v159, v57                              // 0000000049F0: 0B3E739F
	s_waitcnt vmcnt(24)                                        // 0000000049F4: BF8C4F78
	buffer_load_dwordx4 a[64:67], v22, s[12:15], 0 offen       // 0000000049F8: E05C1000 80834016
	v_mul_f32_e32 v54, v160, v160                              // 000000004A00: 0A6D41A0
	v_mul_f32_e32 v55, v161, v161                              // 000000004A04: 0A6F43A1
	v_mul_f32_e32 v56, v162, v162                              // 000000004A08: 0A7145A2
	v_mul_f32_e32 v57, v163, v163                              // 000000004A0C: 0A7347A3
	v_fma_f32 v54, v54, s77, v5                                // 000000004A10: D1CB0036 04149B36
	v_fma_f32 v55, v55, s77, v5                                // 000000004A18: D1CB0037 04149B37
	v_fma_f32 v56, v56, s77, v5                                // 000000004A20: D1CB0038 04149B38
	v_fma_f32 v57, v57, s77, v5                                // 000000004A28: D1CB0039 04149B39
	v_mul_f32_e32 v54, v54, v160                               // 000000004A30: 0A6D4136
	v_mul_f32_e32 v55, v55, v161                               // 000000004A34: 0A6F4337
	v_mul_f32_e32 v56, v56, v162                               // 000000004A38: 0A714538
	v_mul_f32_e32 v57, v57, v163                               // 000000004A3C: 0A734739
	v_mul_f32_e64 v54, v54, s6                                 // 000000004A40: D1050036 00000D36
	v_mul_f32_e64 v55, v55, s6                                 // 000000004A48: D1050037 00000D37
	v_mul_f32_e64 v56, v56, s6                                 // 000000004A50: D1050038 00000D38
	v_mul_f32_e64 v57, v57, s6                                 // 000000004A58: D1050039 00000D39
	v_exp_f32_e32 v54, v54                                     // 000000004A60: 7E6C4136
	v_exp_f32_e32 v55, v55                                     // 000000004A64: 7E6E4137
	v_exp_f32_e32 v56, v56                                     // 000000004A68: 7E704138
	v_exp_f32_e32 v57, v57                                     // 000000004A6C: 7E724139
	buffer_load_dwordx4 a[68:71], v22, s[12:15], 0 offen offset:1024// 000000004A70: E05C1400 80834416
	v_add_f32_e64 v54, v54, 1.0                                // 000000004A78: D1010036 0001E536
	v_add_f32_e64 v55, v55, 1.0                                // 000000004A80: D1010037 0001E537
	v_add_f32_e64 v56, v56, 1.0                                // 000000004A88: D1010038 0001E538
	v_add_f32_e64 v57, v57, 1.0                                // 000000004A90: D1010039 0001E539
	v_rcp_f32_e32 v54, v54                                     // 000000004A98: 7E6C4536
	v_rcp_f32_e32 v55, v55                                     // 000000004A9C: 7E6E4537
	v_rcp_f32_e32 v56, v56                                     // 000000004AA0: 7E704538
	v_rcp_f32_e32 v57, v57                                     // 000000004AA4: 7E724539
	v_mul_f32_e32 v160, v160, v54                              // 000000004AA8: 0B406DA0
	v_mul_f32_e32 v161, v161, v55                              // 000000004AAC: 0B426FA1
	v_mul_f32_e32 v162, v162, v56                              // 000000004AB0: 0B4471A2
	v_mul_f32_e32 v163, v163, v57                              // 000000004AB4: 0B4673A3
	buffer_load_dwordx4 a[72:75], v22, s[12:15], 0 offen offset:2048// 000000004AB8: E05C1800 80834816
	v_mul_f32_e32 v54, v164, v164                              // 000000004AC0: 0A6D49A4
	v_mul_f32_e32 v55, v165, v165                              // 000000004AC4: 0A6F4BA5
	v_mul_f32_e32 v56, v166, v166                              // 000000004AC8: 0A714DA6
	v_mul_f32_e32 v57, v167, v167                              // 000000004ACC: 0A734FA7
	v_fma_f32 v54, v54, s77, v5                                // 000000004AD0: D1CB0036 04149B36
	v_fma_f32 v55, v55, s77, v5                                // 000000004AD8: D1CB0037 04149B37
	v_fma_f32 v56, v56, s77, v5                                // 000000004AE0: D1CB0038 04149B38
	v_fma_f32 v57, v57, s77, v5                                // 000000004AE8: D1CB0039 04149B39
	v_mul_f32_e32 v54, v54, v164                               // 000000004AF0: 0A6D4936
	v_mul_f32_e32 v55, v55, v165                               // 000000004AF4: 0A6F4B37
	v_mul_f32_e32 v56, v56, v166                               // 000000004AF8: 0A714D38
	v_mul_f32_e32 v57, v57, v167                               // 000000004AFC: 0A734F39
	v_mul_f32_e64 v54, v54, s6                                 // 000000004B00: D1050036 00000D36
	v_mul_f32_e64 v55, v55, s6                                 // 000000004B08: D1050037 00000D37
	v_mul_f32_e64 v56, v56, s6                                 // 000000004B10: D1050038 00000D38
	v_mul_f32_e64 v57, v57, s6                                 // 000000004B18: D1050039 00000D39
	v_exp_f32_e32 v54, v54                                     // 000000004B20: 7E6C4136
	v_exp_f32_e32 v55, v55                                     // 000000004B24: 7E6E4137
	v_exp_f32_e32 v56, v56                                     // 000000004B28: 7E704138
	v_exp_f32_e32 v57, v57                                     // 000000004B2C: 7E724139
	buffer_load_dwordx4 a[76:79], v22, s[12:15], 0 offen offset:3072// 000000004B30: E05C1C00 80834C16
	v_add_f32_e64 v54, v54, 1.0                                // 000000004B38: D1010036 0001E536
	v_add_f32_e64 v55, v55, 1.0                                // 000000004B40: D1010037 0001E537
	v_add_f32_e64 v56, v56, 1.0                                // 000000004B48: D1010038 0001E538
	v_add_f32_e64 v57, v57, 1.0                                // 000000004B50: D1010039 0001E539
	v_rcp_f32_e32 v54, v54                                     // 000000004B58: 7E6C4536
	v_rcp_f32_e32 v55, v55                                     // 000000004B5C: 7E6E4537
	v_rcp_f32_e32 v56, v56                                     // 000000004B60: 7E704538
	v_rcp_f32_e32 v57, v57                                     // 000000004B64: 7E724539
	v_mul_f32_e32 v164, v164, v54                              // 000000004B68: 0B486DA4
	v_mul_f32_e32 v165, v165, v55                              // 000000004B6C: 0B4A6FA5
	v_mul_f32_e32 v166, v166, v56                              // 000000004B70: 0B4C71A6
	v_mul_f32_e32 v167, v167, v57                              // 000000004B74: 0B4E73A7
	buffer_load_dwordx4 a[80:83], v23, s[12:15], 0 offen       // 000000004B78: E05C1000 80835017
	v_mul_f32_e32 v54, v168, v168                              // 000000004B80: 0A6D51A8
	v_mul_f32_e32 v55, v169, v169                              // 000000004B84: 0A6F53A9
	v_mul_f32_e32 v56, v170, v170                              // 000000004B88: 0A7155AA
	v_mul_f32_e32 v57, v171, v171                              // 000000004B8C: 0A7357AB
	v_fma_f32 v54, v54, s77, v5                                // 000000004B90: D1CB0036 04149B36
	v_fma_f32 v55, v55, s77, v5                                // 000000004B98: D1CB0037 04149B37
	v_fma_f32 v56, v56, s77, v5                                // 000000004BA0: D1CB0038 04149B38
	v_fma_f32 v57, v57, s77, v5                                // 000000004BA8: D1CB0039 04149B39
	v_mul_f32_e32 v54, v54, v168                               // 000000004BB0: 0A6D5136
	v_mul_f32_e32 v55, v55, v169                               // 000000004BB4: 0A6F5337
	v_mul_f32_e32 v56, v56, v170                               // 000000004BB8: 0A715538
	v_mul_f32_e32 v57, v57, v171                               // 000000004BBC: 0A735739
	v_mul_f32_e64 v54, v54, s6                                 // 000000004BC0: D1050036 00000D36
	v_mul_f32_e64 v55, v55, s6                                 // 000000004BC8: D1050037 00000D37
	v_mul_f32_e64 v56, v56, s6                                 // 000000004BD0: D1050038 00000D38
	v_mul_f32_e64 v57, v57, s6                                 // 000000004BD8: D1050039 00000D39
	v_exp_f32_e32 v54, v54                                     // 000000004BE0: 7E6C4136
	v_exp_f32_e32 v55, v55                                     // 000000004BE4: 7E6E4137
	v_exp_f32_e32 v56, v56                                     // 000000004BE8: 7E704138
	v_exp_f32_e32 v57, v57                                     // 000000004BEC: 7E724139
	buffer_load_dwordx4 a[84:87], v23, s[12:15], 0 offen offset:1024// 000000004BF0: E05C1400 80835417
	v_add_f32_e64 v54, v54, 1.0                                // 000000004BF8: D1010036 0001E536
	v_add_f32_e64 v55, v55, 1.0                                // 000000004C00: D1010037 0001E537
	v_add_f32_e64 v56, v56, 1.0                                // 000000004C08: D1010038 0001E538
	v_add_f32_e64 v57, v57, 1.0                                // 000000004C10: D1010039 0001E539
	v_rcp_f32_e32 v54, v54                                     // 000000004C18: 7E6C4536
	v_rcp_f32_e32 v55, v55                                     // 000000004C1C: 7E6E4537
	v_rcp_f32_e32 v56, v56                                     // 000000004C20: 7E704538
	v_rcp_f32_e32 v57, v57                                     // 000000004C24: 7E724539
	v_mul_f32_e32 v168, v168, v54                              // 000000004C28: 0B506DA8
	v_mul_f32_e32 v169, v169, v55                              // 000000004C2C: 0B526FA9
	v_mul_f32_e32 v170, v170, v56                              // 000000004C30: 0B5471AA
	v_mul_f32_e32 v171, v171, v57                              // 000000004C34: 0B5673AB
	buffer_load_dwordx4 a[88:91], v23, s[12:15], 0 offen offset:2048// 000000004C38: E05C1800 80835817
	v_mul_f32_e32 v54, v172, v172                              // 000000004C40: 0A6D59AC
	v_mul_f32_e32 v55, v173, v173                              // 000000004C44: 0A6F5BAD
	v_mul_f32_e32 v56, v174, v174                              // 000000004C48: 0A715DAE
	v_mul_f32_e32 v57, v175, v175                              // 000000004C4C: 0A735FAF
	v_fma_f32 v54, v54, s77, v5                                // 000000004C50: D1CB0036 04149B36
	v_fma_f32 v55, v55, s77, v5                                // 000000004C58: D1CB0037 04149B37
	v_fma_f32 v56, v56, s77, v5                                // 000000004C60: D1CB0038 04149B38
	v_fma_f32 v57, v57, s77, v5                                // 000000004C68: D1CB0039 04149B39
	v_mul_f32_e32 v54, v54, v172                               // 000000004C70: 0A6D5936
	v_mul_f32_e32 v55, v55, v173                               // 000000004C74: 0A6F5B37
	v_mul_f32_e32 v56, v56, v174                               // 000000004C78: 0A715D38
	v_mul_f32_e32 v57, v57, v175                               // 000000004C7C: 0A735F39
	v_mul_f32_e64 v54, v54, s6                                 // 000000004C80: D1050036 00000D36
	v_mul_f32_e64 v55, v55, s6                                 // 000000004C88: D1050037 00000D37
	v_mul_f32_e64 v56, v56, s6                                 // 000000004C90: D1050038 00000D38
	v_mul_f32_e64 v57, v57, s6                                 // 000000004C98: D1050039 00000D39
	v_exp_f32_e32 v54, v54                                     // 000000004CA0: 7E6C4136
	v_exp_f32_e32 v55, v55                                     // 000000004CA4: 7E6E4137
	v_exp_f32_e32 v56, v56                                     // 000000004CA8: 7E704138
	v_exp_f32_e32 v57, v57                                     // 000000004CAC: 7E724139
	buffer_load_dwordx4 a[92:95], v23, s[12:15], 0 offen offset:3072// 000000004CB0: E05C1C00 80835C17
	v_add_f32_e64 v54, v54, 1.0                                // 000000004CB8: D1010036 0001E536
	v_add_f32_e64 v55, v55, 1.0                                // 000000004CC0: D1010037 0001E537
	v_add_f32_e64 v56, v56, 1.0                                // 000000004CC8: D1010038 0001E538
	v_add_f32_e64 v57, v57, 1.0                                // 000000004CD0: D1010039 0001E539
	v_rcp_f32_e32 v54, v54                                     // 000000004CD8: 7E6C4536
	v_rcp_f32_e32 v55, v55                                     // 000000004CDC: 7E6E4537
	v_rcp_f32_e32 v56, v56                                     // 000000004CE0: 7E704538
	v_rcp_f32_e32 v57, v57                                     // 000000004CE4: 7E724539
	v_mul_f32_e32 v172, v172, v54                              // 000000004CE8: 0B586DAC
	v_mul_f32_e32 v173, v173, v55                              // 000000004CEC: 0B5A6FAD
	v_mul_f32_e32 v174, v174, v56                              // 000000004CF0: 0B5C71AE
	v_mul_f32_e32 v175, v175, v57                              // 000000004CF4: 0B5E73AF
	s_waitcnt vmcnt(24)                                        // 000000004CF8: BF8C4F78
	buffer_load_dwordx4 a[96:99], v24, s[12:15], 0 offen       // 000000004CFC: E05C1000 80836018
	v_mul_f32_e32 v54, v176, v176                              // 000000004D04: 0A6D61B0
	v_mul_f32_e32 v55, v177, v177                              // 000000004D08: 0A6F63B1
	v_mul_f32_e32 v56, v178, v178                              // 000000004D0C: 0A7165B2
	v_mul_f32_e32 v57, v179, v179                              // 000000004D10: 0A7367B3
	v_fma_f32 v54, v54, s77, v5                                // 000000004D14: D1CB0036 04149B36
	v_fma_f32 v55, v55, s77, v5                                // 000000004D1C: D1CB0037 04149B37
	v_fma_f32 v56, v56, s77, v5                                // 000000004D24: D1CB0038 04149B38
	v_fma_f32 v57, v57, s77, v5                                // 000000004D2C: D1CB0039 04149B39
	v_mul_f32_e32 v54, v54, v176                               // 000000004D34: 0A6D6136
	v_mul_f32_e32 v55, v55, v177                               // 000000004D38: 0A6F6337
	v_mul_f32_e32 v56, v56, v178                               // 000000004D3C: 0A716538
	v_mul_f32_e32 v57, v57, v179                               // 000000004D40: 0A736739
	v_mul_f32_e64 v54, v54, s6                                 // 000000004D44: D1050036 00000D36
	v_mul_f32_e64 v55, v55, s6                                 // 000000004D4C: D1050037 00000D37
	v_mul_f32_e64 v56, v56, s6                                 // 000000004D54: D1050038 00000D38
	v_mul_f32_e64 v57, v57, s6                                 // 000000004D5C: D1050039 00000D39
	v_exp_f32_e32 v54, v54                                     // 000000004D64: 7E6C4136
	v_exp_f32_e32 v55, v55                                     // 000000004D68: 7E6E4137
	v_exp_f32_e32 v56, v56                                     // 000000004D6C: 7E704138
	v_exp_f32_e32 v57, v57                                     // 000000004D70: 7E724139
	buffer_load_dwordx4 a[100:103], v24, s[12:15], 0 offen offset:1024// 000000004D74: E05C1400 80836418
	v_add_f32_e64 v54, v54, 1.0                                // 000000004D7C: D1010036 0001E536
	v_add_f32_e64 v55, v55, 1.0                                // 000000004D84: D1010037 0001E537
	v_add_f32_e64 v56, v56, 1.0                                // 000000004D8C: D1010038 0001E538
	v_add_f32_e64 v57, v57, 1.0                                // 000000004D94: D1010039 0001E539
	v_rcp_f32_e32 v54, v54                                     // 000000004D9C: 7E6C4536
	v_rcp_f32_e32 v55, v55                                     // 000000004DA0: 7E6E4537
	v_rcp_f32_e32 v56, v56                                     // 000000004DA4: 7E704538
	v_rcp_f32_e32 v57, v57                                     // 000000004DA8: 7E724539
	v_mul_f32_e32 v176, v176, v54                              // 000000004DAC: 0B606DB0
	v_mul_f32_e32 v177, v177, v55                              // 000000004DB0: 0B626FB1
	v_mul_f32_e32 v178, v178, v56                              // 000000004DB4: 0B6471B2
	v_mul_f32_e32 v179, v179, v57                              // 000000004DB8: 0B6673B3
	buffer_load_dwordx4 a[104:107], v24, s[12:15], 0 offen offset:2048// 000000004DBC: E05C1800 80836818
	v_mul_f32_e32 v54, v180, v180                              // 000000004DC4: 0A6D69B4
	v_mul_f32_e32 v55, v181, v181                              // 000000004DC8: 0A6F6BB5
	v_mul_f32_e32 v56, v182, v182                              // 000000004DCC: 0A716DB6
	v_mul_f32_e32 v57, v183, v183                              // 000000004DD0: 0A736FB7
	v_fma_f32 v54, v54, s77, v5                                // 000000004DD4: D1CB0036 04149B36
	v_fma_f32 v55, v55, s77, v5                                // 000000004DDC: D1CB0037 04149B37
	v_fma_f32 v56, v56, s77, v5                                // 000000004DE4: D1CB0038 04149B38
	v_fma_f32 v57, v57, s77, v5                                // 000000004DEC: D1CB0039 04149B39
	v_mul_f32_e32 v54, v54, v180                               // 000000004DF4: 0A6D6936
	v_mul_f32_e32 v55, v55, v181                               // 000000004DF8: 0A6F6B37
	v_mul_f32_e32 v56, v56, v182                               // 000000004DFC: 0A716D38
	v_mul_f32_e32 v57, v57, v183                               // 000000004E00: 0A736F39
	v_mul_f32_e64 v54, v54, s6                                 // 000000004E04: D1050036 00000D36
	v_mul_f32_e64 v55, v55, s6                                 // 000000004E0C: D1050037 00000D37
	v_mul_f32_e64 v56, v56, s6                                 // 000000004E14: D1050038 00000D38
	v_mul_f32_e64 v57, v57, s6                                 // 000000004E1C: D1050039 00000D39
	v_exp_f32_e32 v54, v54                                     // 000000004E24: 7E6C4136
	v_exp_f32_e32 v55, v55                                     // 000000004E28: 7E6E4137
	v_exp_f32_e32 v56, v56                                     // 000000004E2C: 7E704138
	v_exp_f32_e32 v57, v57                                     // 000000004E30: 7E724139
	buffer_load_dwordx4 a[108:111], v24, s[12:15], 0 offen offset:3072// 000000004E34: E05C1C00 80836C18
	v_add_f32_e64 v54, v54, 1.0                                // 000000004E3C: D1010036 0001E536
	v_add_f32_e64 v55, v55, 1.0                                // 000000004E44: D1010037 0001E537
	v_add_f32_e64 v56, v56, 1.0                                // 000000004E4C: D1010038 0001E538
	v_add_f32_e64 v57, v57, 1.0                                // 000000004E54: D1010039 0001E539
	v_rcp_f32_e32 v54, v54                                     // 000000004E5C: 7E6C4536
	v_rcp_f32_e32 v55, v55                                     // 000000004E60: 7E6E4537
	v_rcp_f32_e32 v56, v56                                     // 000000004E64: 7E704538
	v_rcp_f32_e32 v57, v57                                     // 000000004E68: 7E724539
	v_mul_f32_e32 v180, v180, v54                              // 000000004E6C: 0B686DB4
	v_mul_f32_e32 v181, v181, v55                              // 000000004E70: 0B6A6FB5
	v_mul_f32_e32 v182, v182, v56                              // 000000004E74: 0B6C71B6
	v_mul_f32_e32 v183, v183, v57                              // 000000004E78: 0B6E73B7
	buffer_load_dwordx4 a[112:115], v25, s[12:15], 0 offen     // 000000004E7C: E05C1000 80837019
	v_mul_f32_e32 v54, v184, v184                              // 000000004E84: 0A6D71B8
	v_mul_f32_e32 v55, v185, v185                              // 000000004E88: 0A6F73B9
	v_mul_f32_e32 v56, v186, v186                              // 000000004E8C: 0A7175BA
	v_mul_f32_e32 v57, v187, v187                              // 000000004E90: 0A7377BB
	v_fma_f32 v54, v54, s77, v5                                // 000000004E94: D1CB0036 04149B36
	v_fma_f32 v55, v55, s77, v5                                // 000000004E9C: D1CB0037 04149B37
	v_fma_f32 v56, v56, s77, v5                                // 000000004EA4: D1CB0038 04149B38
	v_fma_f32 v57, v57, s77, v5                                // 000000004EAC: D1CB0039 04149B39
	v_mul_f32_e32 v54, v54, v184                               // 000000004EB4: 0A6D7136
	v_mul_f32_e32 v55, v55, v185                               // 000000004EB8: 0A6F7337
	v_mul_f32_e32 v56, v56, v186                               // 000000004EBC: 0A717538
	v_mul_f32_e32 v57, v57, v187                               // 000000004EC0: 0A737739
	v_mul_f32_e64 v54, v54, s6                                 // 000000004EC4: D1050036 00000D36
	v_mul_f32_e64 v55, v55, s6                                 // 000000004ECC: D1050037 00000D37
	v_mul_f32_e64 v56, v56, s6                                 // 000000004ED4: D1050038 00000D38
	v_mul_f32_e64 v57, v57, s6                                 // 000000004EDC: D1050039 00000D39
	v_exp_f32_e32 v54, v54                                     // 000000004EE4: 7E6C4136
	v_exp_f32_e32 v55, v55                                     // 000000004EE8: 7E6E4137
	v_exp_f32_e32 v56, v56                                     // 000000004EEC: 7E704138
	v_exp_f32_e32 v57, v57                                     // 000000004EF0: 7E724139
	buffer_load_dwordx4 a[116:119], v25, s[12:15], 0 offen offset:1024// 000000004EF4: E05C1400 80837419
	v_add_f32_e64 v54, v54, 1.0                                // 000000004EFC: D1010036 0001E536
	v_add_f32_e64 v55, v55, 1.0                                // 000000004F04: D1010037 0001E537
	v_add_f32_e64 v56, v56, 1.0                                // 000000004F0C: D1010038 0001E538
	v_add_f32_e64 v57, v57, 1.0                                // 000000004F14: D1010039 0001E539
	v_rcp_f32_e32 v54, v54                                     // 000000004F1C: 7E6C4536
	v_rcp_f32_e32 v55, v55                                     // 000000004F20: 7E6E4537
	v_rcp_f32_e32 v56, v56                                     // 000000004F24: 7E704538
	v_rcp_f32_e32 v57, v57                                     // 000000004F28: 7E724539
	v_mul_f32_e32 v184, v184, v54                              // 000000004F2C: 0B706DB8
	v_mul_f32_e32 v185, v185, v55                              // 000000004F30: 0B726FB9
	v_mul_f32_e32 v186, v186, v56                              // 000000004F34: 0B7471BA
	v_mul_f32_e32 v187, v187, v57                              // 000000004F38: 0B7673BB
	buffer_load_dwordx4 a[120:123], v25, s[12:15], 0 offen offset:2048// 000000004F3C: E05C1800 80837819
	v_mul_f32_e32 v54, v188, v188                              // 000000004F44: 0A6D79BC
	v_mul_f32_e32 v55, v189, v189                              // 000000004F48: 0A6F7BBD
	v_mul_f32_e32 v56, v190, v190                              // 000000004F4C: 0A717DBE
	v_mul_f32_e32 v57, v191, v191                              // 000000004F50: 0A737FBF
	v_fma_f32 v54, v54, s77, v5                                // 000000004F54: D1CB0036 04149B36
	v_fma_f32 v55, v55, s77, v5                                // 000000004F5C: D1CB0037 04149B37
	v_fma_f32 v56, v56, s77, v5                                // 000000004F64: D1CB0038 04149B38
	v_fma_f32 v57, v57, s77, v5                                // 000000004F6C: D1CB0039 04149B39
	v_mul_f32_e32 v54, v54, v188                               // 000000004F74: 0A6D7936
	v_mul_f32_e32 v55, v55, v189                               // 000000004F78: 0A6F7B37
	v_mul_f32_e32 v56, v56, v190                               // 000000004F7C: 0A717D38
	v_mul_f32_e32 v57, v57, v191                               // 000000004F80: 0A737F39
	v_mul_f32_e64 v54, v54, s6                                 // 000000004F84: D1050036 00000D36
	v_mul_f32_e64 v55, v55, s6                                 // 000000004F8C: D1050037 00000D37
	v_mul_f32_e64 v56, v56, s6                                 // 000000004F94: D1050038 00000D38
	v_mul_f32_e64 v57, v57, s6                                 // 000000004F9C: D1050039 00000D39
	v_exp_f32_e32 v54, v54                                     // 000000004FA4: 7E6C4136
	v_exp_f32_e32 v55, v55                                     // 000000004FA8: 7E6E4137
	v_exp_f32_e32 v56, v56                                     // 000000004FAC: 7E704138
	v_exp_f32_e32 v57, v57                                     // 000000004FB0: 7E724139
	buffer_load_dwordx4 a[124:127], v25, s[12:15], 0 offen offset:3072// 000000004FB4: E05C1C00 80837C19
	v_add_f32_e64 v54, v54, 1.0                                // 000000004FBC: D1010036 0001E536
	v_add_f32_e64 v55, v55, 1.0                                // 000000004FC4: D1010037 0001E537
	v_add_f32_e64 v56, v56, 1.0                                // 000000004FCC: D1010038 0001E538
	v_add_f32_e64 v57, v57, 1.0                                // 000000004FD4: D1010039 0001E539
	v_rcp_f32_e32 v54, v54                                     // 000000004FDC: 7E6C4536
	v_rcp_f32_e32 v55, v55                                     // 000000004FE0: 7E6E4537
	v_rcp_f32_e32 v56, v56                                     // 000000004FE4: 7E704538
	v_rcp_f32_e32 v57, v57                                     // 000000004FE8: 7E724539
	v_mul_f32_e32 v188, v188, v54                              // 000000004FEC: 0B786DBC
	v_mul_f32_e32 v189, v189, v55                              // 000000004FF0: 0B7A6FBD
	v_mul_f32_e32 v190, v190, v56                              // 000000004FF4: 0B7C71BE
	v_mul_f32_e32 v191, v191, v57                              // 000000004FF8: 0B7E73BF
	v_cmp_u_f32_e64 s[34:35], v128, v128                       // 000000004FFC: D0480022 00030180
	v_add3_u32 v50, v128, v53, 1                               // 000000005004: D1FF0032 02066B80
	v_cndmask_b32_e64 v54, v50, v52, s[34:35]                  // 00000000500C: D1000036 008A6932
	v_cmp_u_f32_e64 s[34:35], v129, v129                       // 000000005014: D0480022 00030381
	v_add3_u32 v50, v129, v53, 1                               // 00000000501C: D1FF0032 02066B81
	v_cndmask_b32_e64 v55, v50, v52, s[34:35]                  // 000000005024: D1000037 008A6932
	v_perm_b32 v128, v55, v54, s52                             // 00000000502C: D1ED0080 00D26D37
	v_cmp_u_f32_e64 s[34:35], v130, v130                       // 000000005034: D0480022 00030582
	v_add3_u32 v50, v130, v53, 1                               // 00000000503C: D1FF0032 02066B82
	v_cndmask_b32_e64 v54, v50, v52, s[34:35]                  // 000000005044: D1000036 008A6932
	v_cmp_u_f32_e64 s[34:35], v131, v131                       // 00000000504C: D0480022 00030783
	v_add3_u32 v50, v131, v53, 1                               // 000000005054: D1FF0032 02066B83
	v_cndmask_b32_e64 v55, v50, v52, s[34:35]                  // 00000000505C: D1000037 008A6932
	v_perm_b32 v129, v55, v54, s52                             // 000000005064: D1ED0081 00D26D37
	v_cmp_u_f32_e64 s[34:35], v132, v132                       // 00000000506C: D0480022 00030984
	v_add3_u32 v50, v132, v53, 1                               // 000000005074: D1FF0032 02066B84
	v_cndmask_b32_e64 v54, v50, v52, s[34:35]                  // 00000000507C: D1000036 008A6932
	v_cmp_u_f32_e64 s[34:35], v133, v133                       // 000000005084: D0480022 00030B85
	v_add3_u32 v50, v133, v53, 1                               // 00000000508C: D1FF0032 02066B85
	v_cndmask_b32_e64 v55, v50, v52, s[34:35]                  // 000000005094: D1000037 008A6932
	v_perm_b32 v130, v55, v54, s52                             // 00000000509C: D1ED0082 00D26D37
	v_cmp_u_f32_e64 s[34:35], v134, v134                       // 0000000050A4: D0480022 00030D86
	v_add3_u32 v50, v134, v53, 1                               // 0000000050AC: D1FF0032 02066B86
	v_cndmask_b32_e64 v54, v50, v52, s[34:35]                  // 0000000050B4: D1000036 008A6932
	v_cmp_u_f32_e64 s[34:35], v135, v135                       // 0000000050BC: D0480022 00030F87
	v_add3_u32 v50, v135, v53, 1                               // 0000000050C4: D1FF0032 02066B87
	v_cndmask_b32_e64 v55, v50, v52, s[34:35]                  // 0000000050CC: D1000037 008A6932
	v_perm_b32 v131, v55, v54, s52                             // 0000000050D4: D1ED0083 00D26D37
	v_cmp_u_f32_e64 s[34:35], v136, v136                       // 0000000050DC: D0480022 00031188
	v_add3_u32 v50, v136, v53, 1                               // 0000000050E4: D1FF0032 02066B88
	v_cndmask_b32_e64 v54, v50, v52, s[34:35]                  // 0000000050EC: D1000036 008A6932
	v_cmp_u_f32_e64 s[34:35], v137, v137                       // 0000000050F4: D0480022 00031389
	v_add3_u32 v50, v137, v53, 1                               // 0000000050FC: D1FF0032 02066B89
	v_cndmask_b32_e64 v55, v50, v52, s[34:35]                  // 000000005104: D1000037 008A6932
	v_perm_b32 v132, v55, v54, s52                             // 00000000510C: D1ED0084 00D26D37
	v_cmp_u_f32_e64 s[34:35], v138, v138                       // 000000005114: D0480022 0003158A
	v_add3_u32 v50, v138, v53, 1                               // 00000000511C: D1FF0032 02066B8A
	v_cndmask_b32_e64 v54, v50, v52, s[34:35]                  // 000000005124: D1000036 008A6932
	v_cmp_u_f32_e64 s[34:35], v139, v139                       // 00000000512C: D0480022 0003178B
	v_add3_u32 v50, v139, v53, 1                               // 000000005134: D1FF0032 02066B8B
	v_cndmask_b32_e64 v55, v50, v52, s[34:35]                  // 00000000513C: D1000037 008A6932
	v_perm_b32 v133, v55, v54, s52                             // 000000005144: D1ED0085 00D26D37
	v_cmp_u_f32_e64 s[34:35], v140, v140                       // 00000000514C: D0480022 0003198C
	v_add3_u32 v50, v140, v53, 1                               // 000000005154: D1FF0032 02066B8C
	v_cndmask_b32_e64 v54, v50, v52, s[34:35]                  // 00000000515C: D1000036 008A6932
	v_cmp_u_f32_e64 s[34:35], v141, v141                       // 000000005164: D0480022 00031B8D
	v_add3_u32 v50, v141, v53, 1                               // 00000000516C: D1FF0032 02066B8D
	v_cndmask_b32_e64 v55, v50, v52, s[34:35]                  // 000000005174: D1000037 008A6932
	v_perm_b32 v134, v55, v54, s52                             // 00000000517C: D1ED0086 00D26D37
	v_cmp_u_f32_e64 s[34:35], v142, v142                       // 000000005184: D0480022 00031D8E
	v_add3_u32 v50, v142, v53, 1                               // 00000000518C: D1FF0032 02066B8E
	v_cndmask_b32_e64 v54, v50, v52, s[34:35]                  // 000000005194: D1000036 008A6932
	v_cmp_u_f32_e64 s[34:35], v143, v143                       // 00000000519C: D0480022 00031F8F
	v_add3_u32 v50, v143, v53, 1                               // 0000000051A4: D1FF0032 02066B8F
	v_cndmask_b32_e64 v55, v50, v52, s[34:35]                  // 0000000051AC: D1000037 008A6932
	v_perm_b32 v135, v55, v54, s52                             // 0000000051B4: D1ED0087 00D26D37
	v_cmp_u_f32_e64 s[34:35], v144, v144                       // 0000000051BC: D0480022 00032190
	v_add3_u32 v50, v144, v53, 1                               // 0000000051C4: D1FF0032 02066B90
	v_cndmask_b32_e64 v54, v50, v52, s[34:35]                  // 0000000051CC: D1000036 008A6932
	v_cmp_u_f32_e64 s[34:35], v145, v145                       // 0000000051D4: D0480022 00032391
	v_add3_u32 v50, v145, v53, 1                               // 0000000051DC: D1FF0032 02066B91
	v_cndmask_b32_e64 v55, v50, v52, s[34:35]                  // 0000000051E4: D1000037 008A6932
	v_perm_b32 v136, v55, v54, s52                             // 0000000051EC: D1ED0088 00D26D37
	v_cmp_u_f32_e64 s[34:35], v146, v146                       // 0000000051F4: D0480022 00032592
	v_add3_u32 v50, v146, v53, 1                               // 0000000051FC: D1FF0032 02066B92
	v_cndmask_b32_e64 v54, v50, v52, s[34:35]                  // 000000005204: D1000036 008A6932
	v_cmp_u_f32_e64 s[34:35], v147, v147                       // 00000000520C: D0480022 00032793
	v_add3_u32 v50, v147, v53, 1                               // 000000005214: D1FF0032 02066B93
	v_cndmask_b32_e64 v55, v50, v52, s[34:35]                  // 00000000521C: D1000037 008A6932
	v_perm_b32 v137, v55, v54, s52                             // 000000005224: D1ED0089 00D26D37
	v_cmp_u_f32_e64 s[34:35], v148, v148                       // 00000000522C: D0480022 00032994
	v_add3_u32 v50, v148, v53, 1                               // 000000005234: D1FF0032 02066B94
	v_cndmask_b32_e64 v54, v50, v52, s[34:35]                  // 00000000523C: D1000036 008A6932
	v_cmp_u_f32_e64 s[34:35], v149, v149                       // 000000005244: D0480022 00032B95
	v_add3_u32 v50, v149, v53, 1                               // 00000000524C: D1FF0032 02066B95
	v_cndmask_b32_e64 v55, v50, v52, s[34:35]                  // 000000005254: D1000037 008A6932
	v_perm_b32 v138, v55, v54, s52                             // 00000000525C: D1ED008A 00D26D37
	v_cmp_u_f32_e64 s[34:35], v150, v150                       // 000000005264: D0480022 00032D96
	v_add3_u32 v50, v150, v53, 1                               // 00000000526C: D1FF0032 02066B96
	v_cndmask_b32_e64 v54, v50, v52, s[34:35]                  // 000000005274: D1000036 008A6932
	v_cmp_u_f32_e64 s[34:35], v151, v151                       // 00000000527C: D0480022 00032F97
	v_add3_u32 v50, v151, v53, 1                               // 000000005284: D1FF0032 02066B97
	v_cndmask_b32_e64 v55, v50, v52, s[34:35]                  // 00000000528C: D1000037 008A6932
	v_perm_b32 v139, v55, v54, s52                             // 000000005294: D1ED008B 00D26D37
	v_cmp_u_f32_e64 s[34:35], v152, v152                       // 00000000529C: D0480022 00033198
	v_add3_u32 v50, v152, v53, 1                               // 0000000052A4: D1FF0032 02066B98
	v_cndmask_b32_e64 v54, v50, v52, s[34:35]                  // 0000000052AC: D1000036 008A6932
	v_cmp_u_f32_e64 s[34:35], v153, v153                       // 0000000052B4: D0480022 00033399
	v_add3_u32 v50, v153, v53, 1                               // 0000000052BC: D1FF0032 02066B99
	v_cndmask_b32_e64 v55, v50, v52, s[34:35]                  // 0000000052C4: D1000037 008A6932
	v_perm_b32 v140, v55, v54, s52                             // 0000000052CC: D1ED008C 00D26D37
	v_cmp_u_f32_e64 s[34:35], v154, v154                       // 0000000052D4: D0480022 0003359A
	v_add3_u32 v50, v154, v53, 1                               // 0000000052DC: D1FF0032 02066B9A
	v_cndmask_b32_e64 v54, v50, v52, s[34:35]                  // 0000000052E4: D1000036 008A6932
	v_cmp_u_f32_e64 s[34:35], v155, v155                       // 0000000052EC: D0480022 0003379B
	v_add3_u32 v50, v155, v53, 1                               // 0000000052F4: D1FF0032 02066B9B
	v_cndmask_b32_e64 v55, v50, v52, s[34:35]                  // 0000000052FC: D1000037 008A6932
	v_perm_b32 v141, v55, v54, s52                             // 000000005304: D1ED008D 00D26D37
	v_cmp_u_f32_e64 s[34:35], v156, v156                       // 00000000530C: D0480022 0003399C
	v_add3_u32 v50, v156, v53, 1                               // 000000005314: D1FF0032 02066B9C
	v_cndmask_b32_e64 v54, v50, v52, s[34:35]                  // 00000000531C: D1000036 008A6932
	v_cmp_u_f32_e64 s[34:35], v157, v157                       // 000000005324: D0480022 00033B9D
	v_add3_u32 v50, v157, v53, 1                               // 00000000532C: D1FF0032 02066B9D
	v_cndmask_b32_e64 v55, v50, v52, s[34:35]                  // 000000005334: D1000037 008A6932
	v_perm_b32 v142, v55, v54, s52                             // 00000000533C: D1ED008E 00D26D37
	v_cmp_u_f32_e64 s[34:35], v158, v158                       // 000000005344: D0480022 00033D9E
	v_add3_u32 v50, v158, v53, 1                               // 00000000534C: D1FF0032 02066B9E
	v_cndmask_b32_e64 v54, v50, v52, s[34:35]                  // 000000005354: D1000036 008A6932
	v_cmp_u_f32_e64 s[34:35], v159, v159                       // 00000000535C: D0480022 00033F9F
	v_add3_u32 v50, v159, v53, 1                               // 000000005364: D1FF0032 02066B9F
	v_cndmask_b32_e64 v55, v50, v52, s[34:35]                  // 00000000536C: D1000037 008A6932
	v_perm_b32 v143, v55, v54, s52                             // 000000005374: D1ED008F 00D26D37
	v_cmp_u_f32_e64 s[34:35], v160, v160                       // 00000000537C: D0480022 000341A0
	v_add3_u32 v50, v160, v53, 1                               // 000000005384: D1FF0032 02066BA0
	v_cndmask_b32_e64 v54, v50, v52, s[34:35]                  // 00000000538C: D1000036 008A6932
	v_cmp_u_f32_e64 s[34:35], v161, v161                       // 000000005394: D0480022 000343A1
	v_add3_u32 v50, v161, v53, 1                               // 00000000539C: D1FF0032 02066BA1
	v_cndmask_b32_e64 v55, v50, v52, s[34:35]                  // 0000000053A4: D1000037 008A6932
	v_perm_b32 v144, v55, v54, s52                             // 0000000053AC: D1ED0090 00D26D37
	v_cmp_u_f32_e64 s[34:35], v162, v162                       // 0000000053B4: D0480022 000345A2
	v_add3_u32 v50, v162, v53, 1                               // 0000000053BC: D1FF0032 02066BA2
	v_cndmask_b32_e64 v54, v50, v52, s[34:35]                  // 0000000053C4: D1000036 008A6932
	v_cmp_u_f32_e64 s[34:35], v163, v163                       // 0000000053CC: D0480022 000347A3
	v_add3_u32 v50, v163, v53, 1                               // 0000000053D4: D1FF0032 02066BA3
	v_cndmask_b32_e64 v55, v50, v52, s[34:35]                  // 0000000053DC: D1000037 008A6932
	v_perm_b32 v145, v55, v54, s52                             // 0000000053E4: D1ED0091 00D26D37
	v_cmp_u_f32_e64 s[34:35], v164, v164                       // 0000000053EC: D0480022 000349A4
	v_add3_u32 v50, v164, v53, 1                               // 0000000053F4: D1FF0032 02066BA4
	v_cndmask_b32_e64 v54, v50, v52, s[34:35]                  // 0000000053FC: D1000036 008A6932
	v_cmp_u_f32_e64 s[34:35], v165, v165                       // 000000005404: D0480022 00034BA5
	v_add3_u32 v50, v165, v53, 1                               // 00000000540C: D1FF0032 02066BA5
	v_cndmask_b32_e64 v55, v50, v52, s[34:35]                  // 000000005414: D1000037 008A6932
	v_perm_b32 v146, v55, v54, s52                             // 00000000541C: D1ED0092 00D26D37
	v_cmp_u_f32_e64 s[34:35], v166, v166                       // 000000005424: D0480022 00034DA6
	v_add3_u32 v50, v166, v53, 1                               // 00000000542C: D1FF0032 02066BA6
	v_cndmask_b32_e64 v54, v50, v52, s[34:35]                  // 000000005434: D1000036 008A6932
	v_cmp_u_f32_e64 s[34:35], v167, v167                       // 00000000543C: D0480022 00034FA7
	v_add3_u32 v50, v167, v53, 1                               // 000000005444: D1FF0032 02066BA7
	v_cndmask_b32_e64 v55, v50, v52, s[34:35]                  // 00000000544C: D1000037 008A6932
	v_perm_b32 v147, v55, v54, s52                             // 000000005454: D1ED0093 00D26D37
	v_cmp_u_f32_e64 s[34:35], v168, v168                       // 00000000545C: D0480022 000351A8
	v_add3_u32 v50, v168, v53, 1                               // 000000005464: D1FF0032 02066BA8
	v_cndmask_b32_e64 v54, v50, v52, s[34:35]                  // 00000000546C: D1000036 008A6932
	v_cmp_u_f32_e64 s[34:35], v169, v169                       // 000000005474: D0480022 000353A9
	v_add3_u32 v50, v169, v53, 1                               // 00000000547C: D1FF0032 02066BA9
	v_cndmask_b32_e64 v55, v50, v52, s[34:35]                  // 000000005484: D1000037 008A6932
	v_perm_b32 v148, v55, v54, s52                             // 00000000548C: D1ED0094 00D26D37
	v_cmp_u_f32_e64 s[34:35], v170, v170                       // 000000005494: D0480022 000355AA
	v_add3_u32 v50, v170, v53, 1                               // 00000000549C: D1FF0032 02066BAA
	v_cndmask_b32_e64 v54, v50, v52, s[34:35]                  // 0000000054A4: D1000036 008A6932
	v_cmp_u_f32_e64 s[34:35], v171, v171                       // 0000000054AC: D0480022 000357AB
	v_add3_u32 v50, v171, v53, 1                               // 0000000054B4: D1FF0032 02066BAB
	v_cndmask_b32_e64 v55, v50, v52, s[34:35]                  // 0000000054BC: D1000037 008A6932
	v_perm_b32 v149, v55, v54, s52                             // 0000000054C4: D1ED0095 00D26D37
	v_cmp_u_f32_e64 s[34:35], v172, v172                       // 0000000054CC: D0480022 000359AC
	v_add3_u32 v50, v172, v53, 1                               // 0000000054D4: D1FF0032 02066BAC
	v_cndmask_b32_e64 v54, v50, v52, s[34:35]                  // 0000000054DC: D1000036 008A6932
	v_cmp_u_f32_e64 s[34:35], v173, v173                       // 0000000054E4: D0480022 00035BAD
	v_add3_u32 v50, v173, v53, 1                               // 0000000054EC: D1FF0032 02066BAD
	v_cndmask_b32_e64 v55, v50, v52, s[34:35]                  // 0000000054F4: D1000037 008A6932
	v_perm_b32 v150, v55, v54, s52                             // 0000000054FC: D1ED0096 00D26D37
	v_cmp_u_f32_e64 s[34:35], v174, v174                       // 000000005504: D0480022 00035DAE
	v_add3_u32 v50, v174, v53, 1                               // 00000000550C: D1FF0032 02066BAE
	v_cndmask_b32_e64 v54, v50, v52, s[34:35]                  // 000000005514: D1000036 008A6932
	v_cmp_u_f32_e64 s[34:35], v175, v175                       // 00000000551C: D0480022 00035FAF
	v_add3_u32 v50, v175, v53, 1                               // 000000005524: D1FF0032 02066BAF
	v_cndmask_b32_e64 v55, v50, v52, s[34:35]                  // 00000000552C: D1000037 008A6932
	v_perm_b32 v151, v55, v54, s52                             // 000000005534: D1ED0097 00D26D37
	v_cmp_u_f32_e64 s[34:35], v176, v176                       // 00000000553C: D0480022 000361B0
	v_add3_u32 v50, v176, v53, 1                               // 000000005544: D1FF0032 02066BB0
	v_cndmask_b32_e64 v54, v50, v52, s[34:35]                  // 00000000554C: D1000036 008A6932
	v_cmp_u_f32_e64 s[34:35], v177, v177                       // 000000005554: D0480022 000363B1
	v_add3_u32 v50, v177, v53, 1                               // 00000000555C: D1FF0032 02066BB1
	v_cndmask_b32_e64 v55, v50, v52, s[34:35]                  // 000000005564: D1000037 008A6932
	v_perm_b32 v152, v55, v54, s52                             // 00000000556C: D1ED0098 00D26D37
	v_cmp_u_f32_e64 s[34:35], v178, v178                       // 000000005574: D0480022 000365B2
	v_add3_u32 v50, v178, v53, 1                               // 00000000557C: D1FF0032 02066BB2
	v_cndmask_b32_e64 v54, v50, v52, s[34:35]                  // 000000005584: D1000036 008A6932
	v_cmp_u_f32_e64 s[34:35], v179, v179                       // 00000000558C: D0480022 000367B3
	v_add3_u32 v50, v179, v53, 1                               // 000000005594: D1FF0032 02066BB3
	v_cndmask_b32_e64 v55, v50, v52, s[34:35]                  // 00000000559C: D1000037 008A6932
	v_perm_b32 v153, v55, v54, s52                             // 0000000055A4: D1ED0099 00D26D37
	v_cmp_u_f32_e64 s[34:35], v180, v180                       // 0000000055AC: D0480022 000369B4
	v_add3_u32 v50, v180, v53, 1                               // 0000000055B4: D1FF0032 02066BB4
	v_cndmask_b32_e64 v54, v50, v52, s[34:35]                  // 0000000055BC: D1000036 008A6932
	v_cmp_u_f32_e64 s[34:35], v181, v181                       // 0000000055C4: D0480022 00036BB5
	v_add3_u32 v50, v181, v53, 1                               // 0000000055CC: D1FF0032 02066BB5
	v_cndmask_b32_e64 v55, v50, v52, s[34:35]                  // 0000000055D4: D1000037 008A6932
	v_perm_b32 v154, v55, v54, s52                             // 0000000055DC: D1ED009A 00D26D37
	v_cmp_u_f32_e64 s[34:35], v182, v182                       // 0000000055E4: D0480022 00036DB6
	v_add3_u32 v50, v182, v53, 1                               // 0000000055EC: D1FF0032 02066BB6
	v_cndmask_b32_e64 v54, v50, v52, s[34:35]                  // 0000000055F4: D1000036 008A6932
	v_cmp_u_f32_e64 s[34:35], v183, v183                       // 0000000055FC: D0480022 00036FB7
	v_add3_u32 v50, v183, v53, 1                               // 000000005604: D1FF0032 02066BB7
	v_cndmask_b32_e64 v55, v50, v52, s[34:35]                  // 00000000560C: D1000037 008A6932
	v_perm_b32 v155, v55, v54, s52                             // 000000005614: D1ED009B 00D26D37
	v_cmp_u_f32_e64 s[34:35], v184, v184                       // 00000000561C: D0480022 000371B8
	v_add3_u32 v50, v184, v53, 1                               // 000000005624: D1FF0032 02066BB8
	v_cndmask_b32_e64 v54, v50, v52, s[34:35]                  // 00000000562C: D1000036 008A6932
	v_cmp_u_f32_e64 s[34:35], v185, v185                       // 000000005634: D0480022 000373B9
	v_add3_u32 v50, v185, v53, 1                               // 00000000563C: D1FF0032 02066BB9
	v_cndmask_b32_e64 v55, v50, v52, s[34:35]                  // 000000005644: D1000037 008A6932
	v_perm_b32 v156, v55, v54, s52                             // 00000000564C: D1ED009C 00D26D37
	v_cmp_u_f32_e64 s[34:35], v186, v186                       // 000000005654: D0480022 000375BA
	v_add3_u32 v50, v186, v53, 1                               // 00000000565C: D1FF0032 02066BBA
	v_cndmask_b32_e64 v54, v50, v52, s[34:35]                  // 000000005664: D1000036 008A6932
	v_cmp_u_f32_e64 s[34:35], v187, v187                       // 00000000566C: D0480022 000377BB
	v_add3_u32 v50, v187, v53, 1                               // 000000005674: D1FF0032 02066BBB
	v_cndmask_b32_e64 v55, v50, v52, s[34:35]                  // 00000000567C: D1000037 008A6932
	v_perm_b32 v157, v55, v54, s52                             // 000000005684: D1ED009D 00D26D37
	v_cmp_u_f32_e64 s[34:35], v188, v188                       // 00000000568C: D0480022 000379BC
	v_add3_u32 v50, v188, v53, 1                               // 000000005694: D1FF0032 02066BBC
	v_cndmask_b32_e64 v54, v50, v52, s[34:35]                  // 00000000569C: D1000036 008A6932
	v_cmp_u_f32_e64 s[34:35], v189, v189                       // 0000000056A4: D0480022 00037BBD
	v_add3_u32 v50, v189, v53, 1                               // 0000000056AC: D1FF0032 02066BBD
	v_cndmask_b32_e64 v55, v50, v52, s[34:35]                  // 0000000056B4: D1000037 008A6932
	v_perm_b32 v158, v55, v54, s52                             // 0000000056BC: D1ED009E 00D26D37
	v_cmp_u_f32_e64 s[34:35], v190, v190                       // 0000000056C4: D0480022 00037DBE
	v_add3_u32 v50, v190, v53, 1                               // 0000000056CC: D1FF0032 02066BBE
	v_cndmask_b32_e64 v54, v50, v52, s[34:35]                  // 0000000056D4: D1000036 008A6932
	v_cmp_u_f32_e64 s[34:35], v191, v191                       // 0000000056DC: D0480022 00037FBF
	v_add3_u32 v50, v191, v53, 1                               // 0000000056E4: D1FF0032 02066BBF
	v_cndmask_b32_e64 v55, v50, v52, s[34:35]                  // 0000000056EC: D1000037 008A6932
	v_perm_b32 v159, v55, v54, s52                             // 0000000056F4: D1ED009F 00D26D37
	v_lshlrev_b32_e32 v54, 3, v0                               // 0000000056FC: 246C0083
	s_mul_i32 s60, 0x200, s7                                   // 000000005700: 923C07FF 00000200
	v_add_u32_e64 v54, v54, s60                                // 000000005708: D1340036 00007936
	ds_write_b64 v54, v[128:129] offset:16640                  // 000000005710: D89A4100 00008036
	ds_write_b64 v54, v[130:131] offset:33024                  // 000000005718: D89A8100 00008236
	ds_write_b64 v54, v[132:133] offset:18688                  // 000000005720: D89A4900 00008436
	ds_write_b64 v54, v[134:135] offset:35072                  // 000000005728: D89A8900 00008636
	ds_write_b64 v54, v[136:137] offset:20736                  // 000000005730: D89A5100 00008836
	ds_write_b64 v54, v[138:139] offset:37120                  // 000000005738: D89A9100 00008A36
	ds_write_b64 v54, v[140:141] offset:22784                  // 000000005740: D89A5900 00008C36
	ds_write_b64 v54, v[142:143] offset:39168                  // 000000005748: D89A9900 00008E36
	ds_write_b64 v54, v[144:145] offset:24832                  // 000000005750: D89A6100 00009036
	ds_write_b64 v54, v[146:147] offset:41216                  // 000000005758: D89AA100 00009236
	ds_write_b64 v54, v[148:149] offset:26880                  // 000000005760: D89A6900 00009436
	ds_write_b64 v54, v[150:151] offset:43264                  // 000000005768: D89AA900 00009636
	ds_write_b64 v54, v[152:153] offset:28928                  // 000000005770: D89A7100 00009836
	ds_write_b64 v54, v[154:155] offset:45312                  // 000000005778: D89AB100 00009A36
	ds_write_b64 v54, v[156:157] offset:30976                  // 000000005780: D89A7900 00009C36
	ds_write_b64 v54, v[158:159] offset:47360                  // 000000005788: D89AB900 00009E36
	s_waitcnt lgkmcnt(0)                                       // 000000005790: BF8CC07F
	s_barrier                                                  // 000000005794: BF8A0000
	v_lshrrev_b32_e32 v54, 4, v0                               // 000000005798: 206C0084
	v_lshlrev_b32_e32 v55, 6, v54                              // 00000000579C: 246E6C86
	v_and_b32_e32 v54, 15, v0                                  // 0000000057A0: 266C008F
	v_lshlrev_b32_e32 v54, 1, v54                              // 0000000057A4: 246C6C81
	v_add_u32_e32 v55, v54, v55                                // 0000000057A8: 686E6F36
	v_lshlrev_b32_e32 v54, 2, v55                              // 0000000057AC: 246C6E82
	ds_read_b64 v[128:129], v54 offset:16640                   // 0000000057B0: D8EC4100 80000036
	ds_read_b64 v[130:131], v54 offset:16768                   // 0000000057B8: D8EC4180 82000036
	ds_read_b64 v[132:133], v54 offset:17664                   // 0000000057C0: D8EC4500 84000036
	ds_read_b64 v[134:135], v54 offset:17792                   // 0000000057C8: D8EC4580 86000036
	ds_read_b64 v[136:137], v54 offset:18688                   // 0000000057D0: D8EC4900 88000036
	ds_read_b64 v[138:139], v54 offset:18816                   // 0000000057D8: D8EC4980 8A000036
	ds_read_b64 v[140:141], v54 offset:19712                   // 0000000057E0: D8EC4D00 8C000036
	ds_read_b64 v[142:143], v54 offset:19840                   // 0000000057E8: D8EC4D80 8E000036
	ds_read_b64 v[144:145], v54 offset:20736                   // 0000000057F0: D8EC5100 90000036
	ds_read_b64 v[146:147], v54 offset:20864                   // 0000000057F8: D8EC5180 92000036
	ds_read_b64 v[148:149], v54 offset:21760                   // 000000005800: D8EC5500 94000036
	ds_read_b64 v[150:151], v54 offset:21888                   // 000000005808: D8EC5580 96000036
	ds_read_b64 v[152:153], v54 offset:22784                   // 000000005810: D8EC5900 98000036
	ds_read_b64 v[154:155], v54 offset:22912                   // 000000005818: D8EC5980 9A000036
	ds_read_b64 v[156:157], v54 offset:23808                   // 000000005820: D8EC5D00 9C000036
	ds_read_b64 v[158:159], v54 offset:23936                   // 000000005828: D8EC5D80 9E000036
	ds_read_b64 v[160:161], v54 offset:24832                   // 000000005830: D8EC6100 A0000036
	ds_read_b64 v[162:163], v54 offset:24960                   // 000000005838: D8EC6180 A2000036
	ds_read_b64 v[164:165], v54 offset:25856                   // 000000005840: D8EC6500 A4000036
	ds_read_b64 v[166:167], v54 offset:25984                   // 000000005848: D8EC6580 A6000036
	ds_read_b64 v[168:169], v54 offset:26880                   // 000000005850: D8EC6900 A8000036
	ds_read_b64 v[170:171], v54 offset:27008                   // 000000005858: D8EC6980 AA000036
	ds_read_b64 v[172:173], v54 offset:27904                   // 000000005860: D8EC6D00 AC000036
	ds_read_b64 v[174:175], v54 offset:28032                   // 000000005868: D8EC6D80 AE000036
	ds_read_b64 v[176:177], v54 offset:28928                   // 000000005870: D8EC7100 B0000036
	ds_read_b64 v[178:179], v54 offset:29056                   // 000000005878: D8EC7180 B2000036
	ds_read_b64 v[180:181], v54 offset:29952                   // 000000005880: D8EC7500 B4000036
	ds_read_b64 v[182:183], v54 offset:30080                   // 000000005888: D8EC7580 B6000036
	ds_read_b64 v[184:185], v54 offset:30976                   // 000000005890: D8EC7900 B8000036
	ds_read_b64 v[186:187], v54 offset:31104                   // 000000005898: D8EC7980 BA000036
	ds_read_b64 v[188:189], v54 offset:32000                   // 0000000058A0: D8EC7D00 BC000036
	ds_read_b64 v[190:191], v54 offset:32128                   // 0000000058A8: D8EC7D80 BE000036
	ds_read_b64 v[192:193], v54 offset:33024                   // 0000000058B0: D8EC8100 C0000036
	ds_read_b64 v[194:195], v54 offset:33152                   // 0000000058B8: D8EC8180 C2000036
	ds_read_b64 v[196:197], v54 offset:34048                   // 0000000058C0: D8EC8500 C4000036
	ds_read_b64 v[198:199], v54 offset:34176                   // 0000000058C8: D8EC8580 C6000036
	ds_read_b64 v[200:201], v54 offset:35072                   // 0000000058D0: D8EC8900 C8000036
	ds_read_b64 v[202:203], v54 offset:35200                   // 0000000058D8: D8EC8980 CA000036
	ds_read_b64 v[204:205], v54 offset:36096                   // 0000000058E0: D8EC8D00 CC000036
	ds_read_b64 v[206:207], v54 offset:36224                   // 0000000058E8: D8EC8D80 CE000036
	ds_read_b64 v[208:209], v54 offset:37120                   // 0000000058F0: D8EC9100 D0000036
	ds_read_b64 v[210:211], v54 offset:37248                   // 0000000058F8: D8EC9180 D2000036
	ds_read_b64 v[212:213], v54 offset:38144                   // 000000005900: D8EC9500 D4000036
	ds_read_b64 v[214:215], v54 offset:38272                   // 000000005908: D8EC9580 D6000036
	ds_read_b64 v[216:217], v54 offset:39168                   // 000000005910: D8EC9900 D8000036
	ds_read_b64 v[218:219], v54 offset:39296                   // 000000005918: D8EC9980 DA000036
	ds_read_b64 v[220:221], v54 offset:40192                   // 000000005920: D8EC9D00 DC000036
	ds_read_b64 v[222:223], v54 offset:40320                   // 000000005928: D8EC9D80 DE000036
	ds_read_b64 v[224:225], v54 offset:41216                   // 000000005930: D8ECA100 E0000036
	ds_read_b64 v[226:227], v54 offset:41344                   // 000000005938: D8ECA180 E2000036
	ds_read_b64 v[228:229], v54 offset:42240                   // 000000005940: D8ECA500 E4000036
	ds_read_b64 v[230:231], v54 offset:42368                   // 000000005948: D8ECA580 E6000036
	ds_read_b64 v[232:233], v54 offset:43264                   // 000000005950: D8ECA900 E8000036
	ds_read_b64 v[234:235], v54 offset:43392                   // 000000005958: D8ECA980 EA000036
	ds_read_b64 v[236:237], v54 offset:44288                   // 000000005960: D8ECAD00 EC000036
	ds_read_b64 v[238:239], v54 offset:44416                   // 000000005968: D8ECAD80 EE000036
	ds_read_b64 v[240:241], v54 offset:45312                   // 000000005970: D8ECB100 F0000036
	ds_read_b64 v[242:243], v54 offset:45440                   // 000000005978: D8ECB180 F2000036
	ds_read_b64 v[244:245], v54 offset:46336                   // 000000005980: D8ECB500 F4000036
	ds_read_b64 v[246:247], v54 offset:46464                   // 000000005988: D8ECB580 F6000036
	ds_read_b64 v[248:249], v54 offset:47360                   // 000000005990: D8ECB900 F8000036
	ds_read_b64 v[250:251], v54 offset:47488                   // 000000005998: D8ECB980 FA000036
	ds_read_b64 v[252:253], v54 offset:48384                   // 0000000059A0: D8ECBD00 FC000036
	ds_read_b64 v[254:255], v54 offset:48512                   // 0000000059A8: D8ECBD80 FE000036
	s_add_u32 s12, s56, s12                                    // 0000000059B0: 800C0C38
	s_addc_u32 s13, 0, s13                                     // 0000000059B4: 820D0D80
	v_mov_b32_e32 v64, 0                                       // 0000000059B8: 7E800280
	v_mov_b32_e32 v80, 0                                       // 0000000059BC: 7EA00280
	v_mov_b32_e32 v65, 0                                       // 0000000059C0: 7E820280
	v_mov_b32_e32 v81, 0                                       // 0000000059C4: 7EA20280
	v_mov_b32_e32 v66, 0                                       // 0000000059C8: 7E840280
	v_mov_b32_e32 v82, 0                                       // 0000000059CC: 7EA40280
	v_mov_b32_e32 v67, 0                                       // 0000000059D0: 7E860280
	v_mov_b32_e32 v83, 0                                       // 0000000059D4: 7EA60280
	v_mov_b32_e32 v68, 0                                       // 0000000059D8: 7E880280
	v_mov_b32_e32 v84, 0                                       // 0000000059DC: 7EA80280
	v_mov_b32_e32 v69, 0                                       // 0000000059E0: 7E8A0280
	v_mov_b32_e32 v85, 0                                       // 0000000059E4: 7EAA0280
	v_mov_b32_e32 v70, 0                                       // 0000000059E8: 7E8C0280
	v_mov_b32_e32 v86, 0                                       // 0000000059EC: 7EAC0280
	v_mov_b32_e32 v71, 0                                       // 0000000059F0: 7E8E0280
	v_mov_b32_e32 v87, 0                                       // 0000000059F4: 7EAE0280
	ds_write_b64 v3, v[64:65] offset:16640                     // 0000000059F8: D89A4100 00004003
	ds_write_b64 v3, v[66:67] offset:20992                     // 000000005A00: D89A5200 00004203
	ds_write_b64 v3, v[68:69] offset:18816                     // 000000005A08: D89A4980 00004403
	ds_write_b64 v3, v[70:71] offset:23168                     // 000000005A10: D89A5A80 00004603
	s_mov_b32 s80, 0                                           // 000000005A18: BED00080
	s_waitcnt vmcnt(24)                                        // 000000005A1C: BF8C4F78

0000000000005a20 <label_0B08>:
	s_waitcnt vmcnt(30) lgkmcnt(0)                             // 000000005A20: BF8C407E
	s_barrier                                                  // 000000005A24: BF8A0000
	v_mfma_f32_16x16x16_bf16 v[64:67], a[0:1], v[128:129], 0   // 000000005A28: D3E10040 0A030100
	ds_read_b32 v10, v4 offset:16640                           // 000000005A30: D86C4100 0A000004
	ds_read_b32 v11, v4 offset:16672                           // 000000005A38: D86C4120 0B000004
	v_mfma_f32_16x16x16_bf16 v[64:67], a[2:3], v[130:131], v[64:67]// 000000005A40: D3E10040 0D030502
	buffer_load_dwordx4 a[128:131], v18, s[12:15], 0 offen     // 000000005A48: E05C1000 80838012
	v_mfma_f32_16x16x16_bf16 v[64:67], a[4:5], v[132:133], v[64:67]// 000000005A50: D3E10040 0D030904
	ds_read_b32 v12, v4 offset:16704                           // 000000005A58: D86C4140 0C000004
	ds_read_b32 v13, v4 offset:16736                           // 000000005A60: D86C4160 0D000004
	v_mfma_f32_16x16x16_bf16 v[64:67], a[6:7], v[134:135], v[64:67]// 000000005A68: D3E10040 0D030D06
	v_mfma_f32_16x16x16_bf16 v[64:67], a[8:9], v[136:137], v[64:67]// 000000005A70: D3E10040 0D031108
	ds_read_b32 v14, v4 offset:20992                           // 000000005A78: D86C5200 0E000004
	ds_read_b32 v15, v4 offset:21024                           // 000000005A80: D86C5220 0F000004
	v_mfma_f32_16x16x16_bf16 v[64:67], a[10:11], v[138:139], v[64:67]// 000000005A88: D3E10040 0D03150A
	buffer_load_dwordx4 a[132:135], v18, s[12:15], 0 offen offset:1024// 000000005A90: E05C1400 80838412
	v_mfma_f32_16x16x16_bf16 v[64:67], a[12:13], v[140:141], v[64:67]// 000000005A98: D3E10040 0D03190C
	ds_read_b32 v16, v4 offset:21056                           // 000000005AA0: D86C5240 10000004
	ds_read_b32 v17, v4 offset:21088                           // 000000005AA8: D86C5260 11000004
	v_mfma_f32_16x16x16_bf16 v[64:67], a[14:15], v[142:143], v[64:67]// 000000005AB0: D3E10040 0D031D0E
	v_mfma_f32_16x16x16_bf16 v[68:71], a[0:1], v[192:193], 0   // 000000005AB8: D3E10044 0A038100
	v_mfma_f32_16x16x16_bf16 v[68:71], a[2:3], v[194:195], v[68:71]// 000000005AC0: D3E10044 0D138502
	buffer_load_dwordx4 a[136:139], v18, s[12:15], 0 offen offset:2048// 000000005AC8: E05C1800 80838812
	v_mfma_f32_16x16x16_bf16 v[68:71], a[4:5], v[196:197], v[68:71]// 000000005AD0: D3E10044 0D138904
	v_mfma_f32_16x16x16_bf16 v[68:71], a[6:7], v[198:199], v[68:71]// 000000005AD8: D3E10044 0D138D06
	v_mfma_f32_16x16x16_bf16 v[68:71], a[8:9], v[200:201], v[68:71]// 000000005AE0: D3E10044 0D139108
	v_mfma_f32_16x16x16_bf16 v[68:71], a[10:11], v[202:203], v[68:71]// 000000005AE8: D3E10044 0D13950A
	buffer_load_dwordx4 a[140:143], v18, s[12:15], 0 offen offset:3072// 000000005AF0: E05C1C00 80838C12
	v_mfma_f32_16x16x16_bf16 v[68:71], a[12:13], v[204:205], v[68:71]// 000000005AF8: D3E10044 0D13990C
	v_mfma_f32_16x16x16_bf16 v[68:71], a[14:15], v[206:207], v[68:71]// 000000005B00: D3E10044 0D139D0E
	s_waitcnt lgkmcnt(0)                                       // 000000005B08: BF8CC07F
	s_mov_b64 exec, s[16:17]                                   // 000000005B0C: BEFE0110
	global_atomic_pk_add_f16 v34, v10, s[8:9]                  // 000000005B10: DD388000 00080A22
	s_mov_b64 exec, s[38:39]                                   // 000000005B18: BEFE0126
	v_mfma_f32_16x16x16_bf16 v[72:75], a[16:17], v[128:129], 0 // 000000005B1C: D3E10048 0A030110
	v_mfma_f32_16x16x16_bf16 v[72:75], a[18:19], v[130:131], v[72:75]// 000000005B24: D3E10048 0D230512
	buffer_load_dwordx4 a[144:147], v19, s[12:15], 0 offen     // 000000005B2C: E05C1000 80839013
	v_mfma_f32_16x16x16_bf16 v[72:75], a[20:21], v[132:133], v[72:75]// 000000005B34: D3E10048 0D230914
	v_mfma_f32_16x16x16_bf16 v[72:75], a[22:23], v[134:135], v[72:75]// 000000005B3C: D3E10048 0D230D16
	v_mfma_f32_16x16x16_bf16 v[72:75], a[24:25], v[136:137], v[72:75]// 000000005B44: D3E10048 0D231118
	v_mfma_f32_16x16x16_bf16 v[72:75], a[26:27], v[138:139], v[72:75]// 000000005B4C: D3E10048 0D23151A
	buffer_load_dwordx4 a[148:151], v19, s[12:15], 0 offen offset:1024// 000000005B54: E05C1400 80839413
	v_mfma_f32_16x16x16_bf16 v[72:75], a[28:29], v[140:141], v[72:75]// 000000005B5C: D3E10048 0D23191C
	v_mfma_f32_16x16x16_bf16 v[72:75], a[30:31], v[142:143], v[72:75]// 000000005B64: D3E10048 0D231D1E
	v_mfma_f32_16x16x16_bf16 v[76:79], a[16:17], v[192:193], 0 // 000000005B6C: D3E1004C 0A038110
	v_mfma_f32_16x16x16_bf16 v[76:79], a[18:19], v[194:195], v[76:79]// 000000005B74: D3E1004C 0D338512
	buffer_load_dwordx4 a[152:155], v19, s[12:15], 0 offen offset:2048// 000000005B7C: E05C1800 80839813
	v_mfma_f32_16x16x16_bf16 v[76:79], a[20:21], v[196:197], v[76:79]// 000000005B84: D3E1004C 0D338914
	v_mfma_f32_16x16x16_bf16 v[76:79], a[22:23], v[198:199], v[76:79]// 000000005B8C: D3E1004C 0D338D16
	v_mfma_f32_16x16x16_bf16 v[76:79], a[24:25], v[200:201], v[76:79]// 000000005B94: D3E1004C 0D339118
	v_mfma_f32_16x16x16_bf16 v[76:79], a[26:27], v[202:203], v[76:79]// 000000005B9C: D3E1004C 0D33951A
	buffer_load_dwordx4 a[156:159], v19, s[12:15], 0 offen offset:3072// 000000005BA4: E05C1C00 80839C13
	v_mfma_f32_16x16x16_bf16 v[76:79], a[28:29], v[204:205], v[76:79]// 000000005BAC: D3E1004C 0D33991C
	v_mfma_f32_16x16x16_bf16 v[76:79], a[30:31], v[206:207], v[76:79]// 000000005BB4: D3E1004C 0D339D1E
	s_mov_b64 exec, s[18:19]                                   // 000000005BBC: BEFE0112
	global_atomic_pk_add_f16 v36, v11, s[8:9]                  // 000000005BC0: DD388000 00080B24
	s_mov_b64 exec, s[38:39]                                   // 000000005BC8: BEFE0126
	s_waitcnt vmcnt(30)                                        // 000000005BCC: BF8C4F7E
	v_mfma_f32_16x16x16_bf16 v[64:67], a[32:33], v[144:145], v[64:67]// 000000005BD0: D3E10040 0D032120
	ds_write_b64 v3, v[80:81] offset:25344                     // 000000005BD8: D89A6300 00005003
	v_mfma_f32_16x16x16_bf16 v[64:67], a[34:35], v[146:147], v[64:67]// 000000005BE0: D3E10040 0D032522
	buffer_load_dwordx4 a[160:163], v20, s[12:15], 0 offen     // 000000005BE8: E05C1000 8083A014
	v_mfma_f32_16x16x16_bf16 v[64:67], a[36:37], v[148:149], v[64:67]// 000000005BF0: D3E10040 0D032924
	ds_write_b64 v3, v[82:83] offset:29696                     // 000000005BF8: D89A7400 00005203
	v_mfma_f32_16x16x16_bf16 v[64:67], a[38:39], v[150:151], v[64:67]// 000000005C00: D3E10040 0D032D26
	v_mfma_f32_16x16x16_bf16 v[64:67], a[40:41], v[152:153], v[64:67]// 000000005C08: D3E10040 0D033128
	ds_write_b64 v3, v[84:85] offset:27520                     // 000000005C10: D89A6B80 00005403
	v_mfma_f32_16x16x16_bf16 v[64:67], a[42:43], v[154:155], v[64:67]// 000000005C18: D3E10040 0D03352A
	buffer_load_dwordx4 a[164:167], v20, s[12:15], 0 offen offset:1024// 000000005C20: E05C1400 8083A414
	v_mfma_f32_16x16x16_bf16 v[64:67], a[44:45], v[156:157], v[64:67]// 000000005C28: D3E10040 0D03392C
	ds_write_b64 v3, v[86:87] offset:31872                     // 000000005C30: D89A7C80 00005603
	v_mfma_f32_16x16x16_bf16 v[64:67], a[46:47], v[158:159], v[64:67]// 000000005C38: D3E10040 0D033D2E
	v_mfma_f32_16x16x16_bf16 v[68:71], a[32:33], v[208:209], v[68:71]// 000000005C40: D3E10044 0D13A120
	v_mfma_f32_16x16x16_bf16 v[68:71], a[34:35], v[210:211], v[68:71]// 000000005C48: D3E10044 0D13A522
	buffer_load_dwordx4 a[168:171], v20, s[12:15], 0 offen offset:2048// 000000005C50: E05C1800 8083A814
	v_mfma_f32_16x16x16_bf16 v[68:71], a[36:37], v[212:213], v[68:71]// 000000005C58: D3E10044 0D13A924
	v_mfma_f32_16x16x16_bf16 v[68:71], a[38:39], v[214:215], v[68:71]// 000000005C60: D3E10044 0D13AD26
	v_mfma_f32_16x16x16_bf16 v[68:71], a[40:41], v[216:217], v[68:71]// 000000005C68: D3E10044 0D13B128
	v_mfma_f32_16x16x16_bf16 v[68:71], a[42:43], v[218:219], v[68:71]// 000000005C70: D3E10044 0D13B52A
	buffer_load_dwordx4 a[172:175], v20, s[12:15], 0 offen offset:3072// 000000005C78: E05C1C00 8083AC14
	v_mfma_f32_16x16x16_bf16 v[68:71], a[44:45], v[220:221], v[68:71]// 000000005C80: D3E10044 0D13B92C
	v_mfma_f32_16x16x16_bf16 v[68:71], a[46:47], v[222:223], v[68:71]// 000000005C88: D3E10044 0D13BD2E
	s_mov_b64 exec, s[20:21]                                   // 000000005C90: BEFE0114
	global_atomic_pk_add_f16 v38, v12, s[8:9]                  // 000000005C94: DD388000 00080C26
	s_mov_b64 exec, s[38:39]                                   // 000000005C9C: BEFE0126
	v_mfma_f32_16x16x16_bf16 v[72:75], a[48:49], v[144:145], v[72:75]// 000000005CA0: D3E10048 0D232130
	v_mfma_f32_16x16x16_bf16 v[72:75], a[50:51], v[146:147], v[72:75]// 000000005CA8: D3E10048 0D232532
	buffer_load_dwordx4 a[176:179], v21, s[12:15], 0 offen     // 000000005CB0: E05C1000 8083B015
	v_mfma_f32_16x16x16_bf16 v[72:75], a[52:53], v[148:149], v[72:75]// 000000005CB8: D3E10048 0D232934
	v_mfma_f32_16x16x16_bf16 v[72:75], a[54:55], v[150:151], v[72:75]// 000000005CC0: D3E10048 0D232D36
	v_mfma_f32_16x16x16_bf16 v[72:75], a[56:57], v[152:153], v[72:75]// 000000005CC8: D3E10048 0D233138
	v_mfma_f32_16x16x16_bf16 v[72:75], a[58:59], v[154:155], v[72:75]// 000000005CD0: D3E10048 0D23353A
	buffer_load_dwordx4 a[180:183], v21, s[12:15], 0 offen offset:1024// 000000005CD8: E05C1400 8083B415
	v_mfma_f32_16x16x16_bf16 v[72:75], a[60:61], v[156:157], v[72:75]// 000000005CE0: D3E10048 0D23393C
	v_mfma_f32_16x16x16_bf16 v[72:75], a[62:63], v[158:159], v[72:75]// 000000005CE8: D3E10048 0D233D3E
	v_mfma_f32_16x16x16_bf16 v[76:79], a[48:49], v[208:209], v[76:79]// 000000005CF0: D3E1004C 0D33A130
	v_mfma_f32_16x16x16_bf16 v[76:79], a[50:51], v[210:211], v[76:79]// 000000005CF8: D3E1004C 0D33A532
	buffer_load_dwordx4 a[184:187], v21, s[12:15], 0 offen offset:2048// 000000005D00: E05C1800 8083B815
	v_mfma_f32_16x16x16_bf16 v[76:79], a[52:53], v[212:213], v[76:79]// 000000005D08: D3E1004C 0D33A934
	v_mfma_f32_16x16x16_bf16 v[76:79], a[54:55], v[214:215], v[76:79]// 000000005D10: D3E1004C 0D33AD36
	v_mfma_f32_16x16x16_bf16 v[76:79], a[56:57], v[216:217], v[76:79]// 000000005D18: D3E1004C 0D33B138
	v_mfma_f32_16x16x16_bf16 v[76:79], a[58:59], v[218:219], v[76:79]// 000000005D20: D3E1004C 0D33B53A
	buffer_load_dwordx4 a[188:191], v21, s[12:15], 0 offen offset:3072// 000000005D28: E05C1C00 8083BC15
	v_mfma_f32_16x16x16_bf16 v[76:79], a[60:61], v[220:221], v[76:79]// 000000005D30: D3E1004C 0D33B93C
	v_mfma_f32_16x16x16_bf16 v[76:79], a[62:63], v[222:223], v[76:79]// 000000005D38: D3E1004C 0D33BD3E
	s_mov_b64 exec, s[22:23]                                   // 000000005D40: BEFE0116
	global_atomic_pk_add_f16 v40, v13, s[8:9]                  // 000000005D44: DD388000 00080D28
	s_mov_b64 exec, s[38:39]                                   // 000000005D4C: BEFE0126
	s_waitcnt vmcnt(30)                                        // 000000005D50: BF8C4F7E
	v_mfma_f32_16x16x16_bf16 v[64:67], a[64:65], v[160:161], v[64:67]// 000000005D54: D3E10040 0D034140
	v_mfma_f32_16x16x16_bf16 v[64:67], a[66:67], v[162:163], v[64:67]// 000000005D5C: D3E10040 0D034542
	buffer_load_dwordx4 a[192:195], v22, s[12:15], 0 offen     // 000000005D64: E05C1000 8083C016
	v_mfma_f32_16x16x16_bf16 v[64:67], a[68:69], v[164:165], v[64:67]// 000000005D6C: D3E10040 0D034944
	s_add_u32 s60, 0x100, s80                                  // 000000005D74: 803C50FF 00000100
	s_cmp_lt_u32 s60, s81                                      // 000000005D7C: BF0A513C
	s_cselect_b32 s56, s56, 0                                  // 000000005D80: 85388038
	v_mfma_f32_16x16x16_bf16 v[64:67], a[70:71], v[166:167], v[64:67]// 000000005D84: D3E10040 0D034D46
	v_mfma_f32_16x16x16_bf16 v[64:67], a[72:73], v[168:169], v[64:67]// 000000005D8C: D3E10040 0D035148
	v_mfma_f32_16x16x16_bf16 v[64:67], a[74:75], v[170:171], v[64:67]// 000000005D94: D3E10040 0D03554A
	buffer_load_dwordx4 a[196:199], v22, s[12:15], 0 offen offset:1024// 000000005D9C: E05C1400 8083C416
	v_mfma_f32_16x16x16_bf16 v[64:67], a[76:77], v[172:173], v[64:67]// 000000005DA4: D3E10040 0D03594C
	s_cmp_ge_u32 s80, 0x100                                    // 000000005DAC: BF09FF50 00000100
	s_cselect_b32 s59, 0x100, s59                              // 000000005DB4: 853B3BFF 00000100
	v_mfma_f32_16x16x16_bf16 v[64:67], a[78:79], v[174:175], v[64:67]// 000000005DBC: D3E10040 0D035D4E
	v_mfma_f32_16x16x16_bf16 v[68:71], a[64:65], v[224:225], v[68:71]// 000000005DC4: D3E10044 0D13C140
	v_mfma_f32_16x16x16_bf16 v[68:71], a[66:67], v[226:227], v[68:71]// 000000005DCC: D3E10044 0D13C542
	buffer_load_dwordx4 a[200:203], v22, s[12:15], 0 offen offset:2048// 000000005DD4: E05C1800 8083C816
	v_mfma_f32_16x16x16_bf16 v[68:71], a[68:69], v[228:229], v[68:71]// 000000005DDC: D3E10044 0D13C944
	s_add_u32 s16, s57, s16                                    // 000000005DE4: 80101039
	s_addc_u32 s17, 0, s17                                     // 000000005DE8: 82111180
	v_mfma_f32_16x16x16_bf16 v[68:71], a[70:71], v[230:231], v[68:71]// 000000005DEC: D3E10044 0D13CD46
	v_mfma_f32_16x16x16_bf16 v[68:71], a[72:73], v[232:233], v[68:71]// 000000005DF4: D3E10044 0D13D148
	v_mfma_f32_16x16x16_bf16 v[68:71], a[74:75], v[234:235], v[68:71]// 000000005DFC: D3E10044 0D13D54A
	buffer_load_dwordx4 a[204:207], v22, s[12:15], 0 offen offset:3072// 000000005E04: E05C1C00 8083CC16
	v_mfma_f32_16x16x16_bf16 v[68:71], a[76:77], v[236:237], v[68:71]// 000000005E0C: D3E10044 0D13D94C
	v_mfma_f32_16x16x16_bf16 v[68:71], a[78:79], v[238:239], v[68:71]// 000000005E14: D3E10044 0D13DD4E
	s_mov_b64 exec, s[24:25]                                   // 000000005E1C: BEFE0118
	global_atomic_pk_add_f16 v42, v14, s[8:9]                  // 000000005E20: DD388000 00080E2A
	s_mov_b64 exec, s[38:39]                                   // 000000005E28: BEFE0126
	v_mfma_f32_16x16x16_bf16 v[72:75], a[80:81], v[160:161], v[72:75]// 000000005E2C: D3E10048 0D234150
	v_mfma_f32_16x16x16_bf16 v[72:75], a[82:83], v[162:163], v[72:75]// 000000005E34: D3E10048 0D234552
	buffer_load_dwordx4 a[208:211], v23, s[12:15], 0 offen     // 000000005E3C: E05C1000 8083D017
	v_mfma_f32_16x16x16_bf16 v[72:75], a[84:85], v[164:165], v[72:75]// 000000005E44: D3E10048 0D234954
	v_mfma_f32_16x16x16_bf16 v[72:75], a[86:87], v[166:167], v[72:75]// 000000005E4C: D3E10048 0D234D56
	v_mfma_f32_16x16x16_bf16 v[72:75], a[88:89], v[168:169], v[72:75]// 000000005E54: D3E10048 0D235158
	v_mfma_f32_16x16x16_bf16 v[72:75], a[90:91], v[170:171], v[72:75]// 000000005E5C: D3E10048 0D23555A
	buffer_load_dwordx4 a[212:215], v23, s[12:15], 0 offen offset:1024// 000000005E64: E05C1400 8083D417
	v_mfma_f32_16x16x16_bf16 v[72:75], a[92:93], v[172:173], v[72:75]// 000000005E6C: D3E10048 0D23595C
	v_mfma_f32_16x16x16_bf16 v[72:75], a[94:95], v[174:175], v[72:75]// 000000005E74: D3E10048 0D235D5E
	v_mfma_f32_16x16x16_bf16 v[76:79], a[80:81], v[224:225], v[76:79]// 000000005E7C: D3E1004C 0D33C150
	v_mfma_f32_16x16x16_bf16 v[76:79], a[82:83], v[226:227], v[76:79]// 000000005E84: D3E1004C 0D33C552
	buffer_load_dwordx4 a[216:219], v23, s[12:15], 0 offen offset:2048// 000000005E8C: E05C1800 8083D817
	v_mfma_f32_16x16x16_bf16 v[76:79], a[84:85], v[228:229], v[76:79]// 000000005E94: D3E1004C 0D33C954
	v_mfma_f32_16x16x16_bf16 v[76:79], a[86:87], v[230:231], v[76:79]// 000000005E9C: D3E1004C 0D33CD56
	v_mfma_f32_16x16x16_bf16 v[76:79], a[88:89], v[232:233], v[76:79]// 000000005EA4: D3E1004C 0D33D158
	v_mfma_f32_16x16x16_bf16 v[76:79], a[90:91], v[234:235], v[76:79]// 000000005EAC: D3E1004C 0D33D55A
	buffer_load_dwordx4 a[220:223], v23, s[12:15], 0 offen offset:3072// 000000005EB4: E05C1C00 8083DC17
	v_mfma_f32_16x16x16_bf16 v[76:79], a[92:93], v[236:237], v[76:79]// 000000005EBC: D3E1004C 0D33D95C
	v_mfma_f32_16x16x16_bf16 v[76:79], a[94:95], v[238:239], v[76:79]// 000000005EC4: D3E1004C 0D33DD5E
	s_mov_b64 exec, s[26:27]                                   // 000000005ECC: BEFE011A
	global_atomic_pk_add_f16 v44, v15, s[8:9]                  // 000000005ED0: DD388000 00080F2C
	s_mov_b64 exec, s[38:39]                                   // 000000005ED8: BEFE0126
	s_waitcnt vmcnt(30)                                        // 000000005EDC: BF8C4F7E
	v_mfma_f32_16x16x16_bf16 v[64:67], a[96:97], v[176:177], v[64:67]// 000000005EE0: D3E10040 0D036160
	v_mfma_f32_16x16x16_bf16 v[64:67], a[98:99], v[178:179], v[64:67]// 000000005EE8: D3E10040 0D036562
	buffer_load_dwordx4 a[224:227], v24, s[12:15], 0 offen     // 000000005EF0: E05C1000 8083E018
	v_mfma_f32_16x16x16_bf16 v[64:67], a[100:101], v[180:181], v[64:67]// 000000005EF8: D3E10040 0D036964
	v_mfma_f32_16x16x16_bf16 v[64:67], a[102:103], v[182:183], v[64:67]// 000000005F00: D3E10040 0D036D66
	v_mfma_f32_16x16x16_bf16 v[64:67], a[104:105], v[184:185], v[64:67]// 000000005F08: D3E10040 0D037168
	v_mfma_f32_16x16x16_bf16 v[64:67], a[106:107], v[186:187], v[64:67]// 000000005F10: D3E10040 0D03756A
	buffer_load_dwordx4 a[228:231], v24, s[12:15], 0 offen offset:1024// 000000005F18: E05C1400 8083E418
	v_mfma_f32_16x16x16_bf16 v[64:67], a[108:109], v[188:189], v[64:67]// 000000005F20: D3E10040 0D03796C
	v_mfma_f32_16x16x16_bf16 v[64:67], a[110:111], v[190:191], v[64:67]// 000000005F28: D3E10040 0D037D6E
	v_mfma_f32_16x16x16_bf16 v[68:71], a[96:97], v[240:241], v[68:71]// 000000005F30: D3E10044 0D13E160
	v_mfma_f32_16x16x16_bf16 v[68:71], a[98:99], v[242:243], v[68:71]// 000000005F38: D3E10044 0D13E562
	buffer_load_dwordx4 a[232:235], v24, s[12:15], 0 offen offset:2048// 000000005F40: E05C1800 8083E818
	v_mfma_f32_16x16x16_bf16 v[68:71], a[100:101], v[244:245], v[68:71]// 000000005F48: D3E10044 0D13E964
	v_mfma_f32_16x16x16_bf16 v[68:71], a[102:103], v[246:247], v[68:71]// 000000005F50: D3E10044 0D13ED66
	v_mfma_f32_16x16x16_bf16 v[68:71], a[104:105], v[248:249], v[68:71]// 000000005F58: D3E10044 0D13F168
	v_mfma_f32_16x16x16_bf16 v[68:71], a[106:107], v[250:251], v[68:71]// 000000005F60: D3E10044 0D13F56A
	buffer_load_dwordx4 a[236:239], v24, s[12:15], 0 offen offset:3072// 000000005F68: E05C1C00 8083EC18
	v_mfma_f32_16x16x16_bf16 v[68:71], a[108:109], v[252:253], v[68:71]// 000000005F70: D3E10044 0D13F96C
	v_mfma_f32_16x16x16_bf16 v[68:71], a[110:111], v[254:255], v[68:71]// 000000005F78: D3E10044 0D13FD6E
	s_mov_b64 exec, s[28:29]                                   // 000000005F80: BEFE011C
	global_atomic_pk_add_f16 v46, v16, s[8:9]                  // 000000005F84: DD388000 0008102E
	s_mov_b64 exec, s[38:39]                                   // 000000005F8C: BEFE0126
	v_mfma_f32_16x16x16_bf16 v[72:75], a[112:113], v[176:177], v[72:75]// 000000005F90: D3E10048 0D236170
	v_mfma_f32_16x16x16_bf16 v[72:75], a[114:115], v[178:179], v[72:75]// 000000005F98: D3E10048 0D236572
	buffer_load_dwordx4 a[240:243], v25, s[12:15], 0 offen     // 000000005FA0: E05C1000 8083F019
	v_mfma_f32_16x16x16_bf16 v[72:75], a[116:117], v[180:181], v[72:75]// 000000005FA8: D3E10048 0D236974
	v_mfma_f32_16x16x16_bf16 v[72:75], a[118:119], v[182:183], v[72:75]// 000000005FB0: D3E10048 0D236D76
	v_mfma_f32_16x16x16_bf16 v[72:75], a[120:121], v[184:185], v[72:75]// 000000005FB8: D3E10048 0D237178
	v_mfma_f32_16x16x16_bf16 v[72:75], a[122:123], v[186:187], v[72:75]// 000000005FC0: D3E10048 0D23757A
	buffer_load_dwordx4 a[244:247], v25, s[12:15], 0 offen offset:1024// 000000005FC8: E05C1400 8083F419
	v_mfma_f32_16x16x16_bf16 v[72:75], a[124:125], v[188:189], v[72:75]// 000000005FD0: D3E10048 0D23797C
	v_mfma_f32_16x16x16_bf16 v[72:75], a[126:127], v[190:191], v[72:75]// 000000005FD8: D3E10048 0D237D7E
	v_mfma_f32_16x16x16_bf16 v[76:79], a[112:113], v[240:241], v[76:79]// 000000005FE0: D3E1004C 0D33E170
	v_mfma_f32_16x16x16_bf16 v[76:79], a[114:115], v[242:243], v[76:79]// 000000005FE8: D3E1004C 0D33E572
	buffer_load_dwordx4 a[248:251], v25, s[12:15], 0 offen offset:2048// 000000005FF0: E05C1800 8083F819
	v_mfma_f32_16x16x16_bf16 v[76:79], a[116:117], v[244:245], v[76:79]// 000000005FF8: D3E1004C 0D33E974
	v_mfma_f32_16x16x16_bf16 v[76:79], a[118:119], v[246:247], v[76:79]// 000000006000: D3E1004C 0D33ED76
	v_mfma_f32_16x16x16_bf16 v[76:79], a[120:121], v[248:249], v[76:79]// 000000006008: D3E1004C 0D33F178
	v_mfma_f32_16x16x16_bf16 v[76:79], a[122:123], v[250:251], v[76:79]// 000000006010: D3E1004C 0D33F57A
	buffer_load_dwordx4 a[252:255], v25, s[12:15], 0 offen offset:3072// 000000006018: E05C1C00 8083FC19
	v_mfma_f32_16x16x16_bf16 v[76:79], a[124:125], v[252:253], v[76:79]// 000000006020: D3E1004C 0D33F97C
	s_add_u32 s12, s56, s12                                    // 000000006028: 800C0C38
	s_addc_u32 s13, 0, s13                                     // 00000000602C: 820D0D80
	v_mfma_f32_16x16x16_bf16 v[76:79], a[126:127], v[254:255], v[76:79]// 000000006030: D3E1004C 0D33FD7E
	s_mov_b64 exec, s[30:31]                                   // 000000006038: BEFE011E
	global_atomic_pk_add_f16 v48, v17, s[8:9]                  // 00000000603C: DD388000 00081130
	s_mov_b64 exec, s[38:39]                                   // 000000006044: BEFE0126
	s_add_u32 s8, s59, s8                                      // 000000006048: 8008083B
	s_addc_u32 s9, 0, s9                                       // 00000000604C: 82090980
	v_mul_f32_e32 v64, v8, v64                                 // 000000006050: 0A808108
	v_mul_f32_e32 v65, v8, v65                                 // 000000006054: 0A828308
	v_mul_f32_e32 v66, v8, v66                                 // 000000006058: 0A848508
	v_mul_f32_e32 v67, v8, v67                                 // 00000000605C: 0A868708
	v_mul_f32_e32 v68, v9, v68                                 // 000000006060: 0A888909
	v_mul_f32_e32 v69, v9, v69                                 // 000000006064: 0A8A8B09
	v_mul_f32_e32 v70, v9, v70                                 // 000000006068: 0A8C8D09
	v_mul_f32_e32 v71, v9, v71                                 // 00000000606C: 0A8E8F09
	v_mul_f32_e32 v72, v8, v72                                 // 000000006070: 0A909108
	v_mul_f32_e32 v73, v8, v73                                 // 000000006074: 0A929308
	v_mul_f32_e32 v74, v8, v74                                 // 000000006078: 0A949508
	v_mul_f32_e32 v75, v8, v75                                 // 00000000607C: 0A969708
	v_mul_f32_e32 v76, v9, v76                                 // 000000006080: 0A989909
	v_mul_f32_e32 v77, v9, v77                                 // 000000006084: 0A9A9B09
	v_mul_f32_e32 v78, v9, v78                                 // 000000006088: 0A9C9D09
	v_mul_f32_e32 v79, v9, v79                                 // 00000000608C: 0A9E9F09
	v_cvt_pkrtz_f16_f32 v64, v64, v65                          // 000000006090: D2960040 00028340
	v_cvt_pkrtz_f16_f32 v65, v66, v67                          // 000000006098: D2960041 00028742
	v_cvt_pkrtz_f16_f32 v66, v68, v69                          // 0000000060A0: D2960042 00028B44
	v_cvt_pkrtz_f16_f32 v67, v70, v71                          // 0000000060A8: D2960043 00028F46
	v_cvt_pkrtz_f16_f32 v68, v72, v73                          // 0000000060B0: D2960044 00029348
	v_cvt_pkrtz_f16_f32 v69, v74, v75                          // 0000000060B8: D2960045 0002974A
	v_cvt_pkrtz_f16_f32 v70, v76, v77                          // 0000000060C0: D2960046 00029B4C
	v_cvt_pkrtz_f16_f32 v71, v78, v79                          // 0000000060C8: D2960047 00029F4E
	s_addk_i32 s80, 0x80                                       // 0000000060D0: B7500080
	s_cmp_lt_i32 s80, s81                                      // 0000000060D4: BF045150
	s_cbranch_scc0 label_0E67                                  // 0000000060D8: BF8401B0
	s_waitcnt vmcnt(30) lgkmcnt(0)                             // 0000000060DC: BF8C407E
	s_barrier                                                  // 0000000060E0: BF8A0000
	v_mfma_f32_16x16x16_bf16 v[80:83], a[128:129], v[128:129], 0// 0000000060E4: D3E10050 0A030180
	ds_read_b32 v10, v4 offset:25344                           // 0000000060EC: D86C6300 0A000004
	ds_read_b32 v11, v4 offset:25376                           // 0000000060F4: D86C6320 0B000004
	v_mfma_f32_16x16x16_bf16 v[80:83], a[130:131], v[130:131], v[80:83]// 0000000060FC: D3E10050 0D430582
	buffer_load_dwordx4 a[0:3], v18, s[12:15], 0 offen         // 000000006104: E05C1000 80830012
	v_mfma_f32_16x16x16_bf16 v[80:83], a[132:133], v[132:133], v[80:83]// 00000000610C: D3E10050 0D430984
	ds_read_b32 v12, v4 offset:25408                           // 000000006114: D86C6340 0C000004
	ds_read_b32 v13, v4 offset:25440                           // 00000000611C: D86C6360 0D000004
	v_mfma_f32_16x16x16_bf16 v[80:83], a[134:135], v[134:135], v[80:83]// 000000006124: D3E10050 0D430D86
	v_mfma_f32_16x16x16_bf16 v[80:83], a[136:137], v[136:137], v[80:83]// 00000000612C: D3E10050 0D431188
	ds_read_b32 v14, v4 offset:29696                           // 000000006134: D86C7400 0E000004
	ds_read_b32 v15, v4 offset:29728                           // 00000000613C: D86C7420 0F000004
	v_mfma_f32_16x16x16_bf16 v[80:83], a[138:139], v[138:139], v[80:83]// 000000006144: D3E10050 0D43158A
	buffer_load_dwordx4 a[4:7], v18, s[12:15], 0 offen offset:1024// 00000000614C: E05C1400 80830412
	v_mfma_f32_16x16x16_bf16 v[80:83], a[140:141], v[140:141], v[80:83]// 000000006154: D3E10050 0D43198C
	ds_read_b32 v16, v4 offset:29760                           // 00000000615C: D86C7440 10000004
	ds_read_b32 v17, v4 offset:29792                           // 000000006164: D86C7460 11000004
	v_mfma_f32_16x16x16_bf16 v[80:83], a[142:143], v[142:143], v[80:83]// 00000000616C: D3E10050 0D431D8E
	v_mfma_f32_16x16x16_bf16 v[84:87], a[128:129], v[192:193], 0// 000000006174: D3E10054 0A038180
	v_mfma_f32_16x16x16_bf16 v[84:87], a[130:131], v[194:195], v[84:87]// 00000000617C: D3E10054 0D538582
	buffer_load_dwordx4 a[8:11], v18, s[12:15], 0 offen offset:2048// 000000006184: E05C1800 80830812
	v_mfma_f32_16x16x16_bf16 v[84:87], a[132:133], v[196:197], v[84:87]// 00000000618C: D3E10054 0D538984
	v_mfma_f32_16x16x16_bf16 v[84:87], a[134:135], v[198:199], v[84:87]// 000000006194: D3E10054 0D538D86
	v_mfma_f32_16x16x16_bf16 v[84:87], a[136:137], v[200:201], v[84:87]// 00000000619C: D3E10054 0D539188
	v_mfma_f32_16x16x16_bf16 v[84:87], a[138:139], v[202:203], v[84:87]// 0000000061A4: D3E10054 0D53958A
	buffer_load_dwordx4 a[12:15], v18, s[12:15], 0 offen offset:3072// 0000000061AC: E05C1C00 80830C12
	v_mfma_f32_16x16x16_bf16 v[84:87], a[140:141], v[204:205], v[84:87]// 0000000061B4: D3E10054 0D53998C
	v_mfma_f32_16x16x16_bf16 v[84:87], a[142:143], v[206:207], v[84:87]// 0000000061BC: D3E10054 0D539D8E
	s_waitcnt lgkmcnt(0)                                       // 0000000061C4: BF8CC07F
	s_mov_b64 exec, s[16:17]                                   // 0000000061C8: BEFE0110
	global_atomic_pk_add_f16 v34, v10, s[8:9]                  // 0000000061CC: DD388000 00080A22
	s_mov_b64 exec, s[38:39]                                   // 0000000061D4: BEFE0126
	v_mfma_f32_16x16x16_bf16 v[88:91], a[144:145], v[128:129], 0// 0000000061D8: D3E10058 0A030190
	v_mfma_f32_16x16x16_bf16 v[88:91], a[146:147], v[130:131], v[88:91]// 0000000061E0: D3E10058 0D630592
	buffer_load_dwordx4 a[16:19], v19, s[12:15], 0 offen       // 0000000061E8: E05C1000 80831013
	v_mfma_f32_16x16x16_bf16 v[88:91], a[148:149], v[132:133], v[88:91]// 0000000061F0: D3E10058 0D630994
	v_mfma_f32_16x16x16_bf16 v[88:91], a[150:151], v[134:135], v[88:91]// 0000000061F8: D3E10058 0D630D96
	v_mfma_f32_16x16x16_bf16 v[88:91], a[152:153], v[136:137], v[88:91]// 000000006200: D3E10058 0D631198
	v_mfma_f32_16x16x16_bf16 v[88:91], a[154:155], v[138:139], v[88:91]// 000000006208: D3E10058 0D63159A
	buffer_load_dwordx4 a[20:23], v19, s[12:15], 0 offen offset:1024// 000000006210: E05C1400 80831413
	v_mfma_f32_16x16x16_bf16 v[88:91], a[156:157], v[140:141], v[88:91]// 000000006218: D3E10058 0D63199C
	v_mfma_f32_16x16x16_bf16 v[88:91], a[158:159], v[142:143], v[88:91]// 000000006220: D3E10058 0D631D9E
	v_mfma_f32_16x16x16_bf16 v[92:95], a[144:145], v[192:193], 0// 000000006228: D3E1005C 0A038190
	v_mfma_f32_16x16x16_bf16 v[92:95], a[146:147], v[194:195], v[92:95]// 000000006230: D3E1005C 0D738592
	buffer_load_dwordx4 a[24:27], v19, s[12:15], 0 offen offset:2048// 000000006238: E05C1800 80831813
	v_mfma_f32_16x16x16_bf16 v[92:95], a[148:149], v[196:197], v[92:95]// 000000006240: D3E1005C 0D738994
	v_mfma_f32_16x16x16_bf16 v[92:95], a[150:151], v[198:199], v[92:95]// 000000006248: D3E1005C 0D738D96
	v_mfma_f32_16x16x16_bf16 v[92:95], a[152:153], v[200:201], v[92:95]// 000000006250: D3E1005C 0D739198
	v_mfma_f32_16x16x16_bf16 v[92:95], a[154:155], v[202:203], v[92:95]// 000000006258: D3E1005C 0D73959A
	buffer_load_dwordx4 a[28:31], v19, s[12:15], 0 offen offset:3072// 000000006260: E05C1C00 80831C13
	v_mfma_f32_16x16x16_bf16 v[92:95], a[156:157], v[204:205], v[92:95]// 000000006268: D3E1005C 0D73999C
	v_mfma_f32_16x16x16_bf16 v[92:95], a[158:159], v[206:207], v[92:95]// 000000006270: D3E1005C 0D739D9E
	s_mov_b64 exec, s[18:19]                                   // 000000006278: BEFE0112
	global_atomic_pk_add_f16 v36, v11, s[8:9]                  // 00000000627C: DD388000 00080B24
	s_mov_b64 exec, s[38:39]                                   // 000000006284: BEFE0126
	s_waitcnt vmcnt(30)                                        // 000000006288: BF8C4F7E
	v_mfma_f32_16x16x16_bf16 v[80:83], a[160:161], v[144:145], v[80:83]// 00000000628C: D3E10050 0D4321A0
	ds_write_b64 v3, v[64:65] offset:16640                     // 000000006294: D89A4100 00004003
	v_mfma_f32_16x16x16_bf16 v[80:83], a[162:163], v[146:147], v[80:83]// 00000000629C: D3E10050 0D4325A2
	buffer_load_dwordx4 a[32:35], v20, s[12:15], 0 offen       // 0000000062A4: E05C1000 80832014
	v_mfma_f32_16x16x16_bf16 v[80:83], a[164:165], v[148:149], v[80:83]// 0000000062AC: D3E10050 0D4329A4
	ds_write_b64 v3, v[66:67] offset:20992                     // 0000000062B4: D89A5200 00004203
	v_mfma_f32_16x16x16_bf16 v[80:83], a[166:167], v[150:151], v[80:83]// 0000000062BC: D3E10050 0D432DA6
	v_mfma_f32_16x16x16_bf16 v[80:83], a[168:169], v[152:153], v[80:83]// 0000000062C4: D3E10050 0D4331A8
	ds_write_b64 v3, v[68:69] offset:18816                     // 0000000062CC: D89A4980 00004403
	v_mfma_f32_16x16x16_bf16 v[80:83], a[170:171], v[154:155], v[80:83]// 0000000062D4: D3E10050 0D4335AA
	buffer_load_dwordx4 a[36:39], v20, s[12:15], 0 offen offset:1024// 0000000062DC: E05C1400 80832414
	v_mfma_f32_16x16x16_bf16 v[80:83], a[172:173], v[156:157], v[80:83]// 0000000062E4: D3E10050 0D4339AC
	ds_write_b64 v3, v[70:71] offset:23168                     // 0000000062EC: D89A5A80 00004603
	v_mfma_f32_16x16x16_bf16 v[80:83], a[174:175], v[158:159], v[80:83]// 0000000062F4: D3E10050 0D433DAE
	v_mfma_f32_16x16x16_bf16 v[84:87], a[160:161], v[208:209], v[84:87]// 0000000062FC: D3E10054 0D53A1A0
	v_mfma_f32_16x16x16_bf16 v[84:87], a[162:163], v[210:211], v[84:87]// 000000006304: D3E10054 0D53A5A2
	buffer_load_dwordx4 a[40:43], v20, s[12:15], 0 offen offset:2048// 00000000630C: E05C1800 80832814
	v_mfma_f32_16x16x16_bf16 v[84:87], a[164:165], v[212:213], v[84:87]// 000000006314: D3E10054 0D53A9A4
	v_mfma_f32_16x16x16_bf16 v[84:87], a[166:167], v[214:215], v[84:87]// 00000000631C: D3E10054 0D53ADA6
	v_mfma_f32_16x16x16_bf16 v[84:87], a[168:169], v[216:217], v[84:87]// 000000006324: D3E10054 0D53B1A8
	v_mfma_f32_16x16x16_bf16 v[84:87], a[170:171], v[218:219], v[84:87]// 00000000632C: D3E10054 0D53B5AA
	buffer_load_dwordx4 a[44:47], v20, s[12:15], 0 offen offset:3072// 000000006334: E05C1C00 80832C14
	v_mfma_f32_16x16x16_bf16 v[84:87], a[172:173], v[220:221], v[84:87]// 00000000633C: D3E10054 0D53B9AC
	v_mfma_f32_16x16x16_bf16 v[84:87], a[174:175], v[222:223], v[84:87]// 000000006344: D3E10054 0D53BDAE
	s_mov_b64 exec, s[20:21]                                   // 00000000634C: BEFE0114
	global_atomic_pk_add_f16 v38, v12, s[8:9]                  // 000000006350: DD388000 00080C26
	s_mov_b64 exec, s[38:39]                                   // 000000006358: BEFE0126
	v_mfma_f32_16x16x16_bf16 v[88:91], a[176:177], v[144:145], v[88:91]// 00000000635C: D3E10058 0D6321B0
	v_mfma_f32_16x16x16_bf16 v[88:91], a[178:179], v[146:147], v[88:91]// 000000006364: D3E10058 0D6325B2
	buffer_load_dwordx4 a[48:51], v21, s[12:15], 0 offen       // 00000000636C: E05C1000 80833015
	v_mfma_f32_16x16x16_bf16 v[88:91], a[180:181], v[148:149], v[88:91]// 000000006374: D3E10058 0D6329B4
	v_mfma_f32_16x16x16_bf16 v[88:91], a[182:183], v[150:151], v[88:91]// 00000000637C: D3E10058 0D632DB6
	v_mfma_f32_16x16x16_bf16 v[88:91], a[184:185], v[152:153], v[88:91]// 000000006384: D3E10058 0D6331B8
	v_mfma_f32_16x16x16_bf16 v[88:91], a[186:187], v[154:155], v[88:91]// 00000000638C: D3E10058 0D6335BA
	buffer_load_dwordx4 a[52:55], v21, s[12:15], 0 offen offset:1024// 000000006394: E05C1400 80833415
	v_mfma_f32_16x16x16_bf16 v[88:91], a[188:189], v[156:157], v[88:91]// 00000000639C: D3E10058 0D6339BC
	v_mfma_f32_16x16x16_bf16 v[88:91], a[190:191], v[158:159], v[88:91]// 0000000063A4: D3E10058 0D633DBE
	v_mfma_f32_16x16x16_bf16 v[92:95], a[176:177], v[208:209], v[92:95]// 0000000063AC: D3E1005C 0D73A1B0
	v_mfma_f32_16x16x16_bf16 v[92:95], a[178:179], v[210:211], v[92:95]// 0000000063B4: D3E1005C 0D73A5B2
	buffer_load_dwordx4 a[56:59], v21, s[12:15], 0 offen offset:2048// 0000000063BC: E05C1800 80833815
	v_mfma_f32_16x16x16_bf16 v[92:95], a[180:181], v[212:213], v[92:95]// 0000000063C4: D3E1005C 0D73A9B4
	v_mfma_f32_16x16x16_bf16 v[92:95], a[182:183], v[214:215], v[92:95]// 0000000063CC: D3E1005C 0D73ADB6
	v_mfma_f32_16x16x16_bf16 v[92:95], a[184:185], v[216:217], v[92:95]// 0000000063D4: D3E1005C 0D73B1B8
	v_mfma_f32_16x16x16_bf16 v[92:95], a[186:187], v[218:219], v[92:95]// 0000000063DC: D3E1005C 0D73B5BA
	buffer_load_dwordx4 a[60:63], v21, s[12:15], 0 offen offset:3072// 0000000063E4: E05C1C00 80833C15
	v_mfma_f32_16x16x16_bf16 v[92:95], a[188:189], v[220:221], v[92:95]// 0000000063EC: D3E1005C 0D73B9BC
	v_mfma_f32_16x16x16_bf16 v[92:95], a[190:191], v[222:223], v[92:95]// 0000000063F4: D3E1005C 0D73BDBE
	s_mov_b64 exec, s[22:23]                                   // 0000000063FC: BEFE0116
	global_atomic_pk_add_f16 v40, v13, s[8:9]                  // 000000006400: DD388000 00080D28
	s_mov_b64 exec, s[38:39]                                   // 000000006408: BEFE0126
	s_waitcnt vmcnt(30)                                        // 00000000640C: BF8C4F7E
	v_mfma_f32_16x16x16_bf16 v[80:83], a[192:193], v[160:161], v[80:83]// 000000006410: D3E10050 0D4341C0
	v_mfma_f32_16x16x16_bf16 v[80:83], a[194:195], v[162:163], v[80:83]// 000000006418: D3E10050 0D4345C2
	buffer_load_dwordx4 a[64:67], v22, s[12:15], 0 offen       // 000000006420: E05C1000 80834016
	v_mfma_f32_16x16x16_bf16 v[80:83], a[196:197], v[164:165], v[80:83]// 000000006428: D3E10050 0D4349C4
	s_add_u32 s60, 0x100, s80                                  // 000000006430: 803C50FF 00000100
	s_cmp_lt_u32 s60, s81                                      // 000000006438: BF0A513C
	s_cselect_b32 s56, s56, 0                                  // 00000000643C: 85388038
	v_mfma_f32_16x16x16_bf16 v[80:83], a[198:199], v[166:167], v[80:83]// 000000006440: D3E10050 0D434DC6
	v_mfma_f32_16x16x16_bf16 v[80:83], a[200:201], v[168:169], v[80:83]// 000000006448: D3E10050 0D4351C8
	v_mfma_f32_16x16x16_bf16 v[80:83], a[202:203], v[170:171], v[80:83]// 000000006450: D3E10050 0D4355CA
	buffer_load_dwordx4 a[68:71], v22, s[12:15], 0 offen offset:1024// 000000006458: E05C1400 80834416
	v_mfma_f32_16x16x16_bf16 v[80:83], a[204:205], v[172:173], v[80:83]// 000000006460: D3E10050 0D4359CC
	s_cmp_ge_u32 s80, 0x100                                    // 000000006468: BF09FF50 00000100
	s_cselect_b32 s59, 0x100, s59                              // 000000006470: 853B3BFF 00000100
	v_mfma_f32_16x16x16_bf16 v[80:83], a[206:207], v[174:175], v[80:83]// 000000006478: D3E10050 0D435DCE
	v_mfma_f32_16x16x16_bf16 v[84:87], a[192:193], v[224:225], v[84:87]// 000000006480: D3E10054 0D53C1C0
	v_mfma_f32_16x16x16_bf16 v[84:87], a[194:195], v[226:227], v[84:87]// 000000006488: D3E10054 0D53C5C2
	buffer_load_dwordx4 a[72:75], v22, s[12:15], 0 offen offset:2048// 000000006490: E05C1800 80834816
	v_mfma_f32_16x16x16_bf16 v[84:87], a[196:197], v[228:229], v[84:87]// 000000006498: D3E10054 0D53C9C4
	s_add_u32 s16, s57, s16                                    // 0000000064A0: 80101039
	s_addc_u32 s17, 0, s17                                     // 0000000064A4: 82111180
	v_mfma_f32_16x16x16_bf16 v[84:87], a[198:199], v[230:231], v[84:87]// 0000000064A8: D3E10054 0D53CDC6
	v_mfma_f32_16x16x16_bf16 v[84:87], a[200:201], v[232:233], v[84:87]// 0000000064B0: D3E10054 0D53D1C8
	v_mfma_f32_16x16x16_bf16 v[84:87], a[202:203], v[234:235], v[84:87]// 0000000064B8: D3E10054 0D53D5CA
	buffer_load_dwordx4 a[76:79], v22, s[12:15], 0 offen offset:3072// 0000000064C0: E05C1C00 80834C16
	v_mfma_f32_16x16x16_bf16 v[84:87], a[204:205], v[236:237], v[84:87]// 0000000064C8: D3E10054 0D53D9CC
	v_mfma_f32_16x16x16_bf16 v[84:87], a[206:207], v[238:239], v[84:87]// 0000000064D0: D3E10054 0D53DDCE
	s_mov_b64 exec, s[24:25]                                   // 0000000064D8: BEFE0118
	global_atomic_pk_add_f16 v42, v14, s[8:9]                  // 0000000064DC: DD388000 00080E2A
	s_mov_b64 exec, s[38:39]                                   // 0000000064E4: BEFE0126
	v_mfma_f32_16x16x16_bf16 v[88:91], a[208:209], v[160:161], v[88:91]// 0000000064E8: D3E10058 0D6341D0
	v_mfma_f32_16x16x16_bf16 v[88:91], a[210:211], v[162:163], v[88:91]// 0000000064F0: D3E10058 0D6345D2
	buffer_load_dwordx4 a[80:83], v23, s[12:15], 0 offen       // 0000000064F8: E05C1000 80835017
	v_mfma_f32_16x16x16_bf16 v[88:91], a[212:213], v[164:165], v[88:91]// 000000006500: D3E10058 0D6349D4
	v_mfma_f32_16x16x16_bf16 v[88:91], a[214:215], v[166:167], v[88:91]// 000000006508: D3E10058 0D634DD6
	v_mfma_f32_16x16x16_bf16 v[88:91], a[216:217], v[168:169], v[88:91]// 000000006510: D3E10058 0D6351D8
	v_mfma_f32_16x16x16_bf16 v[88:91], a[218:219], v[170:171], v[88:91]// 000000006518: D3E10058 0D6355DA
	buffer_load_dwordx4 a[84:87], v23, s[12:15], 0 offen offset:1024// 000000006520: E05C1400 80835417
	v_mfma_f32_16x16x16_bf16 v[88:91], a[220:221], v[172:173], v[88:91]// 000000006528: D3E10058 0D6359DC
	v_mfma_f32_16x16x16_bf16 v[88:91], a[222:223], v[174:175], v[88:91]// 000000006530: D3E10058 0D635DDE
	v_mfma_f32_16x16x16_bf16 v[92:95], a[208:209], v[224:225], v[92:95]// 000000006538: D3E1005C 0D73C1D0
	v_mfma_f32_16x16x16_bf16 v[92:95], a[210:211], v[226:227], v[92:95]// 000000006540: D3E1005C 0D73C5D2
	buffer_load_dwordx4 a[88:91], v23, s[12:15], 0 offen offset:2048// 000000006548: E05C1800 80835817
	v_mfma_f32_16x16x16_bf16 v[92:95], a[212:213], v[228:229], v[92:95]// 000000006550: D3E1005C 0D73C9D4
	v_mfma_f32_16x16x16_bf16 v[92:95], a[214:215], v[230:231], v[92:95]// 000000006558: D3E1005C 0D73CDD6
	v_mfma_f32_16x16x16_bf16 v[92:95], a[216:217], v[232:233], v[92:95]// 000000006560: D3E1005C 0D73D1D8
	v_mfma_f32_16x16x16_bf16 v[92:95], a[218:219], v[234:235], v[92:95]// 000000006568: D3E1005C 0D73D5DA
	buffer_load_dwordx4 a[92:95], v23, s[12:15], 0 offen offset:3072// 000000006570: E05C1C00 80835C17
	v_mfma_f32_16x16x16_bf16 v[92:95], a[220:221], v[236:237], v[92:95]// 000000006578: D3E1005C 0D73D9DC
	v_mfma_f32_16x16x16_bf16 v[92:95], a[222:223], v[238:239], v[92:95]// 000000006580: D3E1005C 0D73DDDE
	s_mov_b64 exec, s[26:27]                                   // 000000006588: BEFE011A
	global_atomic_pk_add_f16 v44, v15, s[8:9]                  // 00000000658C: DD388000 00080F2C
	s_mov_b64 exec, s[38:39]                                   // 000000006594: BEFE0126
	s_waitcnt vmcnt(30)                                        // 000000006598: BF8C4F7E
	v_mfma_f32_16x16x16_bf16 v[80:83], a[224:225], v[176:177], v[80:83]// 00000000659C: D3E10050 0D4361E0
	v_mfma_f32_16x16x16_bf16 v[80:83], a[226:227], v[178:179], v[80:83]// 0000000065A4: D3E10050 0D4365E2
	buffer_load_dwordx4 a[96:99], v24, s[12:15], 0 offen       // 0000000065AC: E05C1000 80836018
	v_mfma_f32_16x16x16_bf16 v[80:83], a[228:229], v[180:181], v[80:83]// 0000000065B4: D3E10050 0D4369E4
	v_mfma_f32_16x16x16_bf16 v[80:83], a[230:231], v[182:183], v[80:83]// 0000000065BC: D3E10050 0D436DE6
	v_mfma_f32_16x16x16_bf16 v[80:83], a[232:233], v[184:185], v[80:83]// 0000000065C4: D3E10050 0D4371E8
	v_mfma_f32_16x16x16_bf16 v[80:83], a[234:235], v[186:187], v[80:83]// 0000000065CC: D3E10050 0D4375EA
	buffer_load_dwordx4 a[100:103], v24, s[12:15], 0 offen offset:1024// 0000000065D4: E05C1400 80836418
	v_mfma_f32_16x16x16_bf16 v[80:83], a[236:237], v[188:189], v[80:83]// 0000000065DC: D3E10050 0D4379EC
	v_mfma_f32_16x16x16_bf16 v[80:83], a[238:239], v[190:191], v[80:83]// 0000000065E4: D3E10050 0D437DEE
	v_mfma_f32_16x16x16_bf16 v[84:87], a[224:225], v[240:241], v[84:87]// 0000000065EC: D3E10054 0D53E1E0
	v_mfma_f32_16x16x16_bf16 v[84:87], a[226:227], v[242:243], v[84:87]// 0000000065F4: D3E10054 0D53E5E2
	buffer_load_dwordx4 a[104:107], v24, s[12:15], 0 offen offset:2048// 0000000065FC: E05C1800 80836818
	v_mfma_f32_16x16x16_bf16 v[84:87], a[228:229], v[244:245], v[84:87]// 000000006604: D3E10054 0D53E9E4
	v_mfma_f32_16x16x16_bf16 v[84:87], a[230:231], v[246:247], v[84:87]// 00000000660C: D3E10054 0D53EDE6
	v_mfma_f32_16x16x16_bf16 v[84:87], a[232:233], v[248:249], v[84:87]// 000000006614: D3E10054 0D53F1E8
	v_mfma_f32_16x16x16_bf16 v[84:87], a[234:235], v[250:251], v[84:87]// 00000000661C: D3E10054 0D53F5EA
	buffer_load_dwordx4 a[108:111], v24, s[12:15], 0 offen offset:3072// 000000006624: E05C1C00 80836C18
	v_mfma_f32_16x16x16_bf16 v[84:87], a[236:237], v[252:253], v[84:87]// 00000000662C: D3E10054 0D53F9EC
	v_mfma_f32_16x16x16_bf16 v[84:87], a[238:239], v[254:255], v[84:87]// 000000006634: D3E10054 0D53FDEE
	s_mov_b64 exec, s[28:29]                                   // 00000000663C: BEFE011C
	global_atomic_pk_add_f16 v46, v16, s[8:9]                  // 000000006640: DD388000 0008102E
	s_mov_b64 exec, s[38:39]                                   // 000000006648: BEFE0126
	v_mfma_f32_16x16x16_bf16 v[88:91], a[240:241], v[176:177], v[88:91]// 00000000664C: D3E10058 0D6361F0
	v_mfma_f32_16x16x16_bf16 v[88:91], a[242:243], v[178:179], v[88:91]// 000000006654: D3E10058 0D6365F2
	buffer_load_dwordx4 a[112:115], v25, s[12:15], 0 offen     // 00000000665C: E05C1000 80837019
	v_mfma_f32_16x16x16_bf16 v[88:91], a[244:245], v[180:181], v[88:91]// 000000006664: D3E10058 0D6369F4
	v_mfma_f32_16x16x16_bf16 v[88:91], a[246:247], v[182:183], v[88:91]// 00000000666C: D3E10058 0D636DF6
	v_mfma_f32_16x16x16_bf16 v[88:91], a[248:249], v[184:185], v[88:91]// 000000006674: D3E10058 0D6371F8
	v_mfma_f32_16x16x16_bf16 v[88:91], a[250:251], v[186:187], v[88:91]// 00000000667C: D3E10058 0D6375FA
	buffer_load_dwordx4 a[116:119], v25, s[12:15], 0 offen offset:1024// 000000006684: E05C1400 80837419
	v_mfma_f32_16x16x16_bf16 v[88:91], a[252:253], v[188:189], v[88:91]// 00000000668C: D3E10058 0D6379FC
	v_mfma_f32_16x16x16_bf16 v[88:91], a[254:255], v[190:191], v[88:91]// 000000006694: D3E10058 0D637DFE
	v_mfma_f32_16x16x16_bf16 v[92:95], a[240:241], v[240:241], v[92:95]// 00000000669C: D3E1005C 0D73E1F0
	v_mfma_f32_16x16x16_bf16 v[92:95], a[242:243], v[242:243], v[92:95]// 0000000066A4: D3E1005C 0D73E5F2
	buffer_load_dwordx4 a[120:123], v25, s[12:15], 0 offen offset:2048// 0000000066AC: E05C1800 80837819
	v_mfma_f32_16x16x16_bf16 v[92:95], a[244:245], v[244:245], v[92:95]// 0000000066B4: D3E1005C 0D73E9F4
	v_mfma_f32_16x16x16_bf16 v[92:95], a[246:247], v[246:247], v[92:95]// 0000000066BC: D3E1005C 0D73EDF6
	v_mfma_f32_16x16x16_bf16 v[92:95], a[248:249], v[248:249], v[92:95]// 0000000066C4: D3E1005C 0D73F1F8
	v_mfma_f32_16x16x16_bf16 v[92:95], a[250:251], v[250:251], v[92:95]// 0000000066CC: D3E1005C 0D73F5FA
	buffer_load_dwordx4 a[124:127], v25, s[12:15], 0 offen offset:3072// 0000000066D4: E05C1C00 80837C19
	v_mfma_f32_16x16x16_bf16 v[92:95], a[252:253], v[252:253], v[92:95]// 0000000066DC: D3E1005C 0D73F9FC
	s_add_u32 s12, s56, s12                                    // 0000000066E4: 800C0C38
	s_addc_u32 s13, 0, s13                                     // 0000000066E8: 820D0D80
	v_mfma_f32_16x16x16_bf16 v[92:95], a[254:255], v[254:255], v[92:95]// 0000000066EC: D3E1005C 0D73FDFE
	s_mov_b64 exec, s[30:31]                                   // 0000000066F4: BEFE011E
	global_atomic_pk_add_f16 v48, v17, s[8:9]                  // 0000000066F8: DD388000 00081130
	s_mov_b64 exec, s[38:39]                                   // 000000006700: BEFE0126
	s_add_u32 s8, s59, s8                                      // 000000006704: 8008083B
	s_addc_u32 s9, 0, s9                                       // 000000006708: 82090980
	v_mul_f32_e32 v80, v8, v80                                 // 00000000670C: 0AA0A108
	v_mul_f32_e32 v81, v8, v81                                 // 000000006710: 0AA2A308
	v_mul_f32_e32 v82, v8, v82                                 // 000000006714: 0AA4A508
	v_mul_f32_e32 v83, v8, v83                                 // 000000006718: 0AA6A708
	v_mul_f32_e32 v84, v9, v84                                 // 00000000671C: 0AA8A909
	v_mul_f32_e32 v85, v9, v85                                 // 000000006720: 0AAAAB09
	v_mul_f32_e32 v86, v9, v86                                 // 000000006724: 0AACAD09
	v_mul_f32_e32 v87, v9, v87                                 // 000000006728: 0AAEAF09
	v_mul_f32_e32 v88, v8, v88                                 // 00000000672C: 0AB0B108
	v_mul_f32_e32 v89, v8, v89                                 // 000000006730: 0AB2B308
	v_mul_f32_e32 v90, v8, v90                                 // 000000006734: 0AB4B508
	v_mul_f32_e32 v91, v8, v91                                 // 000000006738: 0AB6B708
	v_mul_f32_e32 v92, v9, v92                                 // 00000000673C: 0AB8B909
	v_mul_f32_e32 v93, v9, v93                                 // 000000006740: 0ABABB09
	v_mul_f32_e32 v94, v9, v94                                 // 000000006744: 0ABCBD09
	v_mul_f32_e32 v95, v9, v95                                 // 000000006748: 0ABEBF09
	v_cvt_pkrtz_f16_f32 v80, v80, v81                          // 00000000674C: D2960050 0002A350
	v_cvt_pkrtz_f16_f32 v81, v82, v83                          // 000000006754: D2960051 0002A752
	v_cvt_pkrtz_f16_f32 v82, v84, v85                          // 00000000675C: D2960052 0002AB54
	v_cvt_pkrtz_f16_f32 v83, v86, v87                          // 000000006764: D2960053 0002AF56
	v_cvt_pkrtz_f16_f32 v84, v88, v89                          // 00000000676C: D2960054 0002B358
	v_cvt_pkrtz_f16_f32 v85, v90, v91                          // 000000006774: D2960055 0002B75A
	v_cvt_pkrtz_f16_f32 v86, v92, v93                          // 00000000677C: D2960056 0002BB5C
	v_cvt_pkrtz_f16_f32 v87, v94, v95                          // 000000006784: D2960057 0002BF5E
	s_addk_i32 s80, 0x80                                       // 00000000678C: B7500080
	s_cmp_lt_i32 s80, s81                                      // 000000006790: BF045150
	s_cbranch_scc0 label_0E67                                  // 000000006794: BF840001
	s_branch label_0B08                                        // 000000006798: BF82FCA1

000000000000679c <label_0E67>:
	s_nop 0                                                    // 00000000679C: BF800000
	s_nop 0                                                    // 0000000067A0: BF800000
	s_branch label_1A70                                        // 0000000067A4: BF820C06

00000000000067a8 <label_0E6A>:
	s_waitcnt vmcnt(24) lgkmcnt(0)                             // 0000000067A8: BF8C4078
	s_barrier                                                  // 0000000067AC: BF8A0000
	v_mfma_f32_16x16x16_bf16 v[128:131], a[0:1], v[64:65], v[128:131]// 0000000067B0: D3E10080 0E028100
	buffer_load_dwordx4 a[128:131], v26, s[20:23], 0 offen     // 0000000067B8: E05C1000 8085801A
	v_mfma_f32_16x16x16_bf16 v[128:131], a[2:3], v[66:67], v[128:131]// 0000000067C0: D3E10080 0E028502
	v_mfma_f32_16x16x16_bf16 v[128:131], a[4:5], v[68:69], v[128:131]// 0000000067C8: D3E10080 0E028904
	buffer_load_dword v10, s[16:19], 0 offen lds               // 0000000067D0: E0511000 8004000A
	s_add_u32 m0, 0x100, s36                                   // 0000000067D8: 807C24FF 00000100
	v_mfma_f32_16x16x16_bf16 v[128:131], a[6:7], v[70:71], v[128:131]// 0000000067E0: D3E10080 0E028D06
	v_mfma_f32_16x16x16_bf16 v[128:131], a[8:9], v[72:73], v[128:131]// 0000000067E8: D3E10080 0E029108
	buffer_load_dwordx4 a[132:135], v26, s[20:23], 0 offen offset:1024// 0000000067F0: E05C1400 8085841A
	v_mfma_f32_16x16x16_bf16 v[128:131], a[10:11], v[74:75], v[128:131]// 0000000067F8: D3E10080 0E02950A
	v_mfma_f32_16x16x16_bf16 v[128:131], a[12:13], v[76:77], v[128:131]// 000000006800: D3E10080 0E02990C
	buffer_load_dword v11, s[16:19], 0 offen lds               // 000000006808: E0511000 8004000B
	s_add_u32 m0, 0x200, s36                                   // 000000006810: 807C24FF 00000200
	v_mfma_f32_16x16x16_bf16 v[128:131], a[14:15], v[78:79], v[128:131]// 000000006818: D3E10080 0E029D0E
	v_mfma_f32_16x16x16_bf16 v[132:135], a[0:1], v[80:81], v[132:135]// 000000006820: D3E10084 0E12A100
	buffer_load_dwordx4 a[136:139], v26, s[20:23], 0 offen offset:2048// 000000006828: E05C1800 8085881A
	v_mfma_f32_16x16x16_bf16 v[132:135], a[2:3], v[82:83], v[132:135]// 000000006830: D3E10084 0E12A502
	v_mfma_f32_16x16x16_bf16 v[132:135], a[4:5], v[84:85], v[132:135]// 000000006838: D3E10084 0E12A904
	buffer_load_dword v12, s[16:19], 0 offen lds               // 000000006840: E0511000 8004000C
	s_add_u32 m0, 0x300, s36                                   // 000000006848: 807C24FF 00000300
	v_mfma_f32_16x16x16_bf16 v[132:135], a[6:7], v[86:87], v[132:135]// 000000006850: D3E10084 0E12AD06
	v_mfma_f32_16x16x16_bf16 v[132:135], a[8:9], v[88:89], v[132:135]// 000000006858: D3E10084 0E12B108
	buffer_load_dwordx4 a[140:143], v26, s[20:23], 0 offen offset:3072// 000000006860: E05C1C00 80858C1A
	v_mfma_f32_16x16x16_bf16 v[132:135], a[10:11], v[90:91], v[132:135]// 000000006868: D3E10084 0E12B50A
	v_mfma_f32_16x16x16_bf16 v[132:135], a[12:13], v[92:93], v[132:135]// 000000006870: D3E10084 0E12B90C
	buffer_load_dword v13, s[16:19], 0 offen lds               // 000000006878: E0511000 8004000D
	s_add_u32 m0, 0x400, s36                                   // 000000006880: 807C24FF 00000400
	v_mfma_f32_16x16x16_bf16 v[132:135], a[14:15], v[94:95], v[132:135]// 000000006888: D3E10084 0E12BD0E
	v_mfma_f32_16x16x16_bf16 v[136:139], a[16:17], v[64:65], v[136:139]// 000000006890: D3E10088 0E228110
	buffer_load_dwordx4 a[144:147], v27, s[20:23], 0 offen     // 000000006898: E05C1000 8085901B
	v_mfma_f32_16x16x16_bf16 v[136:139], a[18:19], v[66:67], v[136:139]// 0000000068A0: D3E10088 0E228512
	v_mfma_f32_16x16x16_bf16 v[136:139], a[20:21], v[68:69], v[136:139]// 0000000068A8: D3E10088 0E228914
	buffer_load_dword v14, s[16:19], 0 offen lds               // 0000000068B0: E0511000 8004000E
	s_add_u32 m0, 0x500, s36                                   // 0000000068B8: 807C24FF 00000500
	v_mfma_f32_16x16x16_bf16 v[136:139], a[22:23], v[70:71], v[136:139]// 0000000068C0: D3E10088 0E228D16
	v_mfma_f32_16x16x16_bf16 v[136:139], a[24:25], v[72:73], v[136:139]// 0000000068C8: D3E10088 0E229118
	buffer_load_dwordx4 a[148:151], v27, s[20:23], 0 offen offset:1024// 0000000068D0: E05C1400 8085941B
	v_mfma_f32_16x16x16_bf16 v[136:139], a[26:27], v[74:75], v[136:139]// 0000000068D8: D3E10088 0E22951A
	v_mfma_f32_16x16x16_bf16 v[136:139], a[28:29], v[76:77], v[136:139]// 0000000068E0: D3E10088 0E22991C
	buffer_load_dword v15, s[16:19], 0 offen lds               // 0000000068E8: E0511000 8004000F
	s_add_u32 m0, 0x600, s36                                   // 0000000068F0: 807C24FF 00000600
	v_mfma_f32_16x16x16_bf16 v[136:139], a[30:31], v[78:79], v[136:139]// 0000000068F8: D3E10088 0E229D1E
	v_mfma_f32_16x16x16_bf16 v[140:143], a[16:17], v[80:81], v[140:143]// 000000006900: D3E1008C 0E32A110
	buffer_load_dwordx4 a[152:155], v27, s[20:23], 0 offen offset:2048// 000000006908: E05C1800 8085981B
	v_mfma_f32_16x16x16_bf16 v[140:143], a[18:19], v[82:83], v[140:143]// 000000006910: D3E1008C 0E32A512
	v_mfma_f32_16x16x16_bf16 v[140:143], a[20:21], v[84:85], v[140:143]// 000000006918: D3E1008C 0E32A914
	buffer_load_dword v16, s[16:19], 0 offen lds               // 000000006920: E0511000 80040010
	s_add_u32 m0, 0x700, s36                                   // 000000006928: 807C24FF 00000700
	v_mfma_f32_16x16x16_bf16 v[140:143], a[22:23], v[86:87], v[140:143]// 000000006930: D3E1008C 0E32AD16
	v_mfma_f32_16x16x16_bf16 v[140:143], a[24:25], v[88:89], v[140:143]// 000000006938: D3E1008C 0E32B118
	buffer_load_dwordx4 a[156:159], v27, s[20:23], 0 offen offset:3072// 000000006940: E05C1C00 80859C1B
	v_mfma_f32_16x16x16_bf16 v[140:143], a[26:27], v[90:91], v[140:143]// 000000006948: D3E1008C 0E32B51A
	v_mfma_f32_16x16x16_bf16 v[140:143], a[28:29], v[92:93], v[140:143]// 000000006950: D3E1008C 0E32B91C
	buffer_load_dword v17, s[16:19], 0 offen lds               // 000000006958: E0511000 80040011
	s_add_u32 m0, 0, s37                                       // 000000006960: 807C2580
	v_mfma_f32_16x16x16_bf16 v[140:143], a[30:31], v[94:95], v[140:143]// 000000006964: D3E1008C 0E32BD1E
	s_waitcnt vmcnt(32)                                        // 00000000696C: BF8C8F70
	v_mfma_f32_16x16x16_bf16 v[144:147], a[32:33], v[64:65], v[144:147]// 000000006970: D3E10090 0E428120
	buffer_load_dwordx4 a[160:163], v28, s[20:23], 0 offen     // 000000006978: E05C1000 8085A01C
	v_mfma_f32_16x16x16_bf16 v[144:147], a[34:35], v[66:67], v[144:147]// 000000006980: D3E10090 0E428522
	v_mfma_f32_16x16x16_bf16 v[144:147], a[36:37], v[68:69], v[144:147]// 000000006988: D3E10090 0E428924
	ds_read_b128 v[96:99], v2 offset:8320                      // 000000006990: D9FE2080 60000002
	v_mfma_f32_16x16x16_bf16 v[144:147], a[38:39], v[70:71], v[144:147]// 000000006998: D3E10090 0E428D26
	v_mfma_f32_16x16x16_bf16 v[144:147], a[40:41], v[72:73], v[144:147]// 0000000069A0: D3E10090 0E429128
	buffer_load_dwordx4 a[164:167], v28, s[20:23], 0 offen offset:1024// 0000000069A8: E05C1400 8085A41C
	v_mfma_f32_16x16x16_bf16 v[144:147], a[42:43], v[74:75], v[144:147]// 0000000069B0: D3E10090 0E42952A
	v_mfma_f32_16x16x16_bf16 v[144:147], a[44:45], v[76:77], v[144:147]// 0000000069B8: D3E10090 0E42992C
	ds_read_b128 v[100:103], v2 offset:8384                    // 0000000069C0: D9FE20C0 64000002
	v_mfma_f32_16x16x16_bf16 v[144:147], a[46:47], v[78:79], v[144:147]// 0000000069C8: D3E10090 0E429D2E
	v_mfma_f32_16x16x16_bf16 v[148:151], a[32:33], v[80:81], v[148:151]// 0000000069D0: D3E10094 0E52A120
	buffer_load_dwordx4 a[168:171], v28, s[20:23], 0 offen offset:2048// 0000000069D8: E05C1800 8085A81C
	v_mfma_f32_16x16x16_bf16 v[148:151], a[34:35], v[82:83], v[148:151]// 0000000069E0: D3E10094 0E52A522
	v_mfma_f32_16x16x16_bf16 v[148:151], a[36:37], v[84:85], v[148:151]// 0000000069E8: D3E10094 0E52A924
	ds_read_b128 v[104:107], v2 offset:8448                    // 0000000069F0: D9FE2100 68000002
	v_mfma_f32_16x16x16_bf16 v[148:151], a[38:39], v[86:87], v[148:151]// 0000000069F8: D3E10094 0E52AD26
	v_mfma_f32_16x16x16_bf16 v[148:151], a[40:41], v[88:89], v[148:151]// 000000006A00: D3E10094 0E52B128
	buffer_load_dwordx4 a[172:175], v28, s[20:23], 0 offen offset:3072// 000000006A08: E05C1C00 8085AC1C
	v_mfma_f32_16x16x16_bf16 v[148:151], a[42:43], v[90:91], v[148:151]// 000000006A10: D3E10094 0E52B52A
	v_mfma_f32_16x16x16_bf16 v[148:151], a[44:45], v[92:93], v[148:151]// 000000006A18: D3E10094 0E52B92C
	ds_read_b128 v[108:111], v2 offset:8512                    // 000000006A20: D9FE2140 6C000002
	v_mfma_f32_16x16x16_bf16 v[148:151], a[46:47], v[94:95], v[148:151]// 000000006A28: D3E10094 0E52BD2E
	v_mfma_f32_16x16x16_bf16 v[152:155], a[48:49], v[64:65], v[152:155]// 000000006A30: D3E10098 0E628130
	buffer_load_dwordx4 a[176:179], v29, s[20:23], 0 offen     // 000000006A38: E05C1000 8085B01D
	v_mfma_f32_16x16x16_bf16 v[152:155], a[50:51], v[66:67], v[152:155]// 000000006A40: D3E10098 0E628532
	v_mfma_f32_16x16x16_bf16 v[152:155], a[52:53], v[68:69], v[152:155]// 000000006A48: D3E10098 0E628934
	ds_read_b128 v[112:115], v2 offset:9344                    // 000000006A50: D9FE2480 70000002
	v_mfma_f32_16x16x16_bf16 v[152:155], a[54:55], v[70:71], v[152:155]// 000000006A58: D3E10098 0E628D36
	v_mfma_f32_16x16x16_bf16 v[152:155], a[56:57], v[72:73], v[152:155]// 000000006A60: D3E10098 0E629138
	buffer_load_dwordx4 a[180:183], v29, s[20:23], 0 offen offset:1024// 000000006A68: E05C1400 8085B41D
	v_mfma_f32_16x16x16_bf16 v[152:155], a[58:59], v[74:75], v[152:155]// 000000006A70: D3E10098 0E62953A
	v_mfma_f32_16x16x16_bf16 v[152:155], a[60:61], v[76:77], v[152:155]// 000000006A78: D3E10098 0E62993C
	ds_read_b128 v[116:119], v2 offset:9408                    // 000000006A80: D9FE24C0 74000002
	v_mfma_f32_16x16x16_bf16 v[152:155], a[62:63], v[78:79], v[152:155]// 000000006A88: D3E10098 0E629D3E
	v_mfma_f32_16x16x16_bf16 v[156:159], a[48:49], v[80:81], v[156:159]// 000000006A90: D3E1009C 0E72A130
	buffer_load_dwordx4 a[184:187], v29, s[20:23], 0 offen offset:2048// 000000006A98: E05C1800 8085B81D
	v_mfma_f32_16x16x16_bf16 v[156:159], a[50:51], v[82:83], v[156:159]// 000000006AA0: D3E1009C 0E72A532
	v_mfma_f32_16x16x16_bf16 v[156:159], a[52:53], v[84:85], v[156:159]// 000000006AA8: D3E1009C 0E72A934
	ds_read_b128 v[120:123], v2 offset:9472                    // 000000006AB0: D9FE2500 78000002
	v_mfma_f32_16x16x16_bf16 v[156:159], a[54:55], v[86:87], v[156:159]// 000000006AB8: D3E1009C 0E72AD36
	v_mfma_f32_16x16x16_bf16 v[156:159], a[56:57], v[88:89], v[156:159]// 000000006AC0: D3E1009C 0E72B138
	buffer_load_dwordx4 a[188:191], v29, s[20:23], 0 offen offset:3072// 000000006AC8: E05C1C00 8085BC1D
	v_mfma_f32_16x16x16_bf16 v[156:159], a[58:59], v[90:91], v[156:159]// 000000006AD0: D3E1009C 0E72B53A
	v_mfma_f32_16x16x16_bf16 v[156:159], a[60:61], v[92:93], v[156:159]// 000000006AD8: D3E1009C 0E72B93C
	ds_read_b128 v[124:127], v2 offset:9536                    // 000000006AE0: D9FE2540 7C000002
	v_mfma_f32_16x16x16_bf16 v[156:159], a[62:63], v[94:95], v[156:159]// 000000006AE8: D3E1009C 0E72BD3E
	s_waitcnt vmcnt(32)                                        // 000000006AF0: BF8C8F70
	v_mfma_f32_16x16x16_bf16 v[160:163], a[64:65], v[64:65], v[160:163]// 000000006AF4: D3E100A0 0E828140
	buffer_load_dwordx4 a[192:195], v30, s[20:23], 0 offen     // 000000006AFC: E05C1000 8085C01E
	v_mfma_f32_16x16x16_bf16 v[160:163], a[66:67], v[66:67], v[160:163]// 000000006B04: D3E100A0 0E828542
	v_mfma_f32_16x16x16_bf16 v[160:163], a[68:69], v[68:69], v[160:163]// 000000006B0C: D3E100A0 0E828944
	s_add_u32 s60, 0x180, s80                                  // 000000006B14: 803C50FF 00000180
	s_cmp_lt_u32 s60, s81                                      // 000000006B1C: BF0A513C
	s_cselect_b32 s57, s57, 0                                  // 000000006B20: 85398039
	v_mfma_f32_16x16x16_bf16 v[160:163], a[70:71], v[70:71], v[160:163]// 000000006B24: D3E100A0 0E828D46
	v_mfma_f32_16x16x16_bf16 v[160:163], a[72:73], v[72:73], v[160:163]// 000000006B2C: D3E100A0 0E829148
	buffer_load_dwordx4 a[196:199], v30, s[20:23], 0 offen offset:1024// 000000006B34: E05C1400 8085C41E
	v_mfma_f32_16x16x16_bf16 v[160:163], a[74:75], v[74:75], v[160:163]// 000000006B3C: D3E100A0 0E82954A
	v_mfma_f32_16x16x16_bf16 v[160:163], a[76:77], v[76:77], v[160:163]// 000000006B44: D3E100A0 0E82994C
	s_add_u32 s60, 0x100, s80                                  // 000000006B4C: 803C50FF 00000100
	s_cmp_lt_u32 s60, s81                                      // 000000006B54: BF0A513C
	s_cselect_b32 s58, s58, 0                                  // 000000006B58: 853A803A
	v_mfma_f32_16x16x16_bf16 v[160:163], a[78:79], v[78:79], v[160:163]// 000000006B5C: D3E100A0 0E829D4E
	v_mfma_f32_16x16x16_bf16 v[164:167], a[64:65], v[80:81], v[164:167]// 000000006B64: D3E100A4 0E92A140
	buffer_load_dwordx4 a[200:203], v30, s[20:23], 0 offen offset:2048// 000000006B6C: E05C1800 8085C81E
	v_mfma_f32_16x16x16_bf16 v[164:167], a[66:67], v[82:83], v[164:167]// 000000006B74: D3E100A4 0E92A542
	v_mfma_f32_16x16x16_bf16 v[164:167], a[68:69], v[84:85], v[164:167]// 000000006B7C: D3E100A4 0E92A944
	s_add_u32 s16, s57, s16                                    // 000000006B84: 80101039
	s_addc_u32 s17, 0, s17                                     // 000000006B88: 82111180
	v_mfma_f32_16x16x16_bf16 v[164:167], a[70:71], v[86:87], v[164:167]// 000000006B8C: D3E100A4 0E92AD46
	v_mfma_f32_16x16x16_bf16 v[164:167], a[72:73], v[88:89], v[164:167]// 000000006B94: D3E100A4 0E92B148
	buffer_load_dwordx4 a[204:207], v30, s[20:23], 0 offen offset:3072// 000000006B9C: E05C1C00 8085CC1E
	v_mfma_f32_16x16x16_bf16 v[164:167], a[74:75], v[90:91], v[164:167]// 000000006BA4: D3E100A4 0E92B54A
	v_mfma_f32_16x16x16_bf16 v[164:167], a[76:77], v[92:93], v[164:167]// 000000006BAC: D3E100A4 0E92B94C
	v_mfma_f32_16x16x16_bf16 v[164:167], a[78:79], v[94:95], v[164:167]// 000000006BB4: D3E100A4 0E92BD4E
	v_mfma_f32_16x16x16_bf16 v[168:171], a[80:81], v[64:65], v[168:171]// 000000006BBC: D3E100A8 0EA28150
	buffer_load_dwordx4 a[208:211], v31, s[20:23], 0 offen     // 000000006BC4: E05C1000 8085D01F
	v_mfma_f32_16x16x16_bf16 v[168:171], a[82:83], v[66:67], v[168:171]// 000000006BCC: D3E100A8 0EA28552
	v_mfma_f32_16x16x16_bf16 v[168:171], a[84:85], v[68:69], v[168:171]// 000000006BD4: D3E100A8 0EA28954
	v_mfma_f32_16x16x16_bf16 v[168:171], a[86:87], v[70:71], v[168:171]// 000000006BDC: D3E100A8 0EA28D56
	v_mfma_f32_16x16x16_bf16 v[168:171], a[88:89], v[72:73], v[168:171]// 000000006BE4: D3E100A8 0EA29158
	buffer_load_dwordx4 a[212:215], v31, s[20:23], 0 offen offset:1024// 000000006BEC: E05C1400 8085D41F
	v_mfma_f32_16x16x16_bf16 v[168:171], a[90:91], v[74:75], v[168:171]// 000000006BF4: D3E100A8 0EA2955A
	v_mfma_f32_16x16x16_bf16 v[168:171], a[92:93], v[76:77], v[168:171]// 000000006BFC: D3E100A8 0EA2995C
	v_mfma_f32_16x16x16_bf16 v[168:171], a[94:95], v[78:79], v[168:171]// 000000006C04: D3E100A8 0EA29D5E
	v_mfma_f32_16x16x16_bf16 v[172:175], a[80:81], v[80:81], v[172:175]// 000000006C0C: D3E100AC 0EB2A150
	buffer_load_dwordx4 a[216:219], v31, s[20:23], 0 offen offset:2048// 000000006C14: E05C1800 8085D81F
	v_mfma_f32_16x16x16_bf16 v[172:175], a[82:83], v[82:83], v[172:175]// 000000006C1C: D3E100AC 0EB2A552
	v_mfma_f32_16x16x16_bf16 v[172:175], a[84:85], v[84:85], v[172:175]// 000000006C24: D3E100AC 0EB2A954
	v_mfma_f32_16x16x16_bf16 v[172:175], a[86:87], v[86:87], v[172:175]// 000000006C2C: D3E100AC 0EB2AD56
	v_mfma_f32_16x16x16_bf16 v[172:175], a[88:89], v[88:89], v[172:175]// 000000006C34: D3E100AC 0EB2B158
	buffer_load_dwordx4 a[220:223], v31, s[20:23], 0 offen offset:3072// 000000006C3C: E05C1C00 8085DC1F
	v_mfma_f32_16x16x16_bf16 v[172:175], a[90:91], v[90:91], v[172:175]// 000000006C44: D3E100AC 0EB2B55A
	v_mfma_f32_16x16x16_bf16 v[172:175], a[92:93], v[92:93], v[172:175]// 000000006C4C: D3E100AC 0EB2B95C
	v_mfma_f32_16x16x16_bf16 v[172:175], a[94:95], v[94:95], v[172:175]// 000000006C54: D3E100AC 0EB2BD5E
	s_waitcnt vmcnt(32)                                        // 000000006C5C: BF8C8F70
	v_mfma_f32_16x16x16_bf16 v[176:179], a[96:97], v[64:65], v[176:179]// 000000006C60: D3E100B0 0EC28160
	buffer_load_dwordx4 a[224:227], v32, s[20:23], 0 offen     // 000000006C68: E05C1000 8085E020
	v_mfma_f32_16x16x16_bf16 v[176:179], a[98:99], v[66:67], v[176:179]// 000000006C70: D3E100B0 0EC28562
	v_mfma_f32_16x16x16_bf16 v[176:179], a[100:101], v[68:69], v[176:179]// 000000006C78: D3E100B0 0EC28964
	v_mfma_f32_16x16x16_bf16 v[176:179], a[102:103], v[70:71], v[176:179]// 000000006C80: D3E100B0 0EC28D66
	v_mfma_f32_16x16x16_bf16 v[176:179], a[104:105], v[72:73], v[176:179]// 000000006C88: D3E100B0 0EC29168
	buffer_load_dwordx4 a[228:231], v32, s[20:23], 0 offen offset:1024// 000000006C90: E05C1400 8085E420
	v_mfma_f32_16x16x16_bf16 v[176:179], a[106:107], v[74:75], v[176:179]// 000000006C98: D3E100B0 0EC2956A
	v_mfma_f32_16x16x16_bf16 v[176:179], a[108:109], v[76:77], v[176:179]// 000000006CA0: D3E100B0 0EC2996C
	v_mfma_f32_16x16x16_bf16 v[176:179], a[110:111], v[78:79], v[176:179]// 000000006CA8: D3E100B0 0EC29D6E
	v_mfma_f32_16x16x16_bf16 v[180:183], a[96:97], v[80:81], v[180:183]// 000000006CB0: D3E100B4 0ED2A160
	buffer_load_dwordx4 a[232:235], v32, s[20:23], 0 offen offset:2048// 000000006CB8: E05C1800 8085E820
	v_mfma_f32_16x16x16_bf16 v[180:183], a[98:99], v[82:83], v[180:183]// 000000006CC0: D3E100B4 0ED2A562
	v_mfma_f32_16x16x16_bf16 v[180:183], a[100:101], v[84:85], v[180:183]// 000000006CC8: D3E100B4 0ED2A964
	v_mfma_f32_16x16x16_bf16 v[180:183], a[102:103], v[86:87], v[180:183]// 000000006CD0: D3E100B4 0ED2AD66
	v_mfma_f32_16x16x16_bf16 v[180:183], a[104:105], v[88:89], v[180:183]// 000000006CD8: D3E100B4 0ED2B168
	buffer_load_dwordx4 a[236:239], v32, s[20:23], 0 offen offset:3072// 000000006CE0: E05C1C00 8085EC20
	v_mfma_f32_16x16x16_bf16 v[180:183], a[106:107], v[90:91], v[180:183]// 000000006CE8: D3E100B4 0ED2B56A
	v_mfma_f32_16x16x16_bf16 v[180:183], a[108:109], v[92:93], v[180:183]// 000000006CF0: D3E100B4 0ED2B96C
	v_mfma_f32_16x16x16_bf16 v[180:183], a[110:111], v[94:95], v[180:183]// 000000006CF8: D3E100B4 0ED2BD6E
	v_mfma_f32_16x16x16_bf16 v[184:187], a[112:113], v[64:65], v[184:187]// 000000006D00: D3E100B8 0EE28170
	buffer_load_dwordx4 a[240:243], v33, s[20:23], 0 offen     // 000000006D08: E05C1000 8085F021
	v_mfma_f32_16x16x16_bf16 v[184:187], a[114:115], v[66:67], v[184:187]// 000000006D10: D3E100B8 0EE28572
	v_mfma_f32_16x16x16_bf16 v[184:187], a[116:117], v[68:69], v[184:187]// 000000006D18: D3E100B8 0EE28974
	v_mfma_f32_16x16x16_bf16 v[184:187], a[118:119], v[70:71], v[184:187]// 000000006D20: D3E100B8 0EE28D76
	v_mfma_f32_16x16x16_bf16 v[184:187], a[120:121], v[72:73], v[184:187]// 000000006D28: D3E100B8 0EE29178
	buffer_load_dwordx4 a[244:247], v33, s[20:23], 0 offen offset:1024// 000000006D30: E05C1400 8085F421
	v_mfma_f32_16x16x16_bf16 v[184:187], a[122:123], v[74:75], v[184:187]// 000000006D38: D3E100B8 0EE2957A
	v_mfma_f32_16x16x16_bf16 v[184:187], a[124:125], v[76:77], v[184:187]// 000000006D40: D3E100B8 0EE2997C
	v_mfma_f32_16x16x16_bf16 v[184:187], a[126:127], v[78:79], v[184:187]// 000000006D48: D3E100B8 0EE29D7E
	v_mfma_f32_16x16x16_bf16 v[188:191], a[112:113], v[80:81], v[188:191]// 000000006D50: D3E100BC 0EF2A170
	buffer_load_dwordx4 a[248:251], v33, s[20:23], 0 offen offset:2048// 000000006D58: E05C1800 8085F821
	v_mfma_f32_16x16x16_bf16 v[188:191], a[114:115], v[82:83], v[188:191]// 000000006D60: D3E100BC 0EF2A572
	v_mfma_f32_16x16x16_bf16 v[188:191], a[116:117], v[84:85], v[188:191]// 000000006D68: D3E100BC 0EF2A974
	v_mfma_f32_16x16x16_bf16 v[188:191], a[118:119], v[86:87], v[188:191]// 000000006D70: D3E100BC 0EF2AD76
	v_mfma_f32_16x16x16_bf16 v[188:191], a[120:121], v[88:89], v[188:191]// 000000006D78: D3E100BC 0EF2B178
	buffer_load_dwordx4 a[252:255], v33, s[20:23], 0 offen offset:3072// 000000006D80: E05C1C00 8085FC21
	v_mfma_f32_16x16x16_bf16 v[188:191], a[122:123], v[90:91], v[188:191]// 000000006D88: D3E100BC 0EF2B57A
	v_mfma_f32_16x16x16_bf16 v[188:191], a[124:125], v[92:93], v[188:191]// 000000006D90: D3E100BC 0EF2B97C
	s_add_u32 s20, s58, s20                                    // 000000006D98: 8014143A
	s_addc_u32 s21, 0, s21                                     // 000000006D9C: 82151580
	v_mfma_f32_16x16x16_bf16 v[188:191], a[126:127], v[94:95], v[188:191]// 000000006DA0: D3E100BC 0EF2BD7E
	s_addk_i32 s80, 0x80                                       // 000000006DA8: B7500080
	s_cmp_lt_i32 s80, s81                                      // 000000006DAC: BF045150
	s_cbranch_scc0 label_1171                                  // 000000006DB0: BF840184
	s_waitcnt vmcnt(24) lgkmcnt(0)                             // 000000006DB4: BF8C4078
	s_barrier                                                  // 000000006DB8: BF8A0000
	v_mfma_f32_16x16x16_bf16 v[128:131], a[128:129], v[96:97], v[128:131]// 000000006DBC: D3E10080 0E02C180
	buffer_load_dwordx4 a[0:3], v26, s[20:23], 0 offen         // 000000006DC4: E05C1000 8085001A
	v_mfma_f32_16x16x16_bf16 v[128:131], a[130:131], v[98:99], v[128:131]// 000000006DCC: D3E10080 0E02C582
	v_mfma_f32_16x16x16_bf16 v[128:131], a[132:133], v[100:101], v[128:131]// 000000006DD4: D3E10080 0E02C984
	buffer_load_dword v10, s[16:19], 0 offen lds               // 000000006DDC: E0511000 8004000A
	s_add_u32 m0, 0x100, s37                                   // 000000006DE4: 807C25FF 00000100
	v_mfma_f32_16x16x16_bf16 v[128:131], a[134:135], v[102:103], v[128:131]// 000000006DEC: D3E10080 0E02CD86
	v_mfma_f32_16x16x16_bf16 v[128:131], a[136:137], v[104:105], v[128:131]// 000000006DF4: D3E10080 0E02D188
	buffer_load_dwordx4 a[4:7], v26, s[20:23], 0 offen offset:1024// 000000006DFC: E05C1400 8085041A
	v_mfma_f32_16x16x16_bf16 v[128:131], a[138:139], v[106:107], v[128:131]// 000000006E04: D3E10080 0E02D58A
	v_mfma_f32_16x16x16_bf16 v[128:131], a[140:141], v[108:109], v[128:131]// 000000006E0C: D3E10080 0E02D98C
	buffer_load_dword v11, s[16:19], 0 offen lds               // 000000006E14: E0511000 8004000B
	s_add_u32 m0, 0x200, s37                                   // 000000006E1C: 807C25FF 00000200
	v_mfma_f32_16x16x16_bf16 v[128:131], a[142:143], v[110:111], v[128:131]// 000000006E24: D3E10080 0E02DD8E
	v_mfma_f32_16x16x16_bf16 v[132:135], a[128:129], v[112:113], v[132:135]// 000000006E2C: D3E10084 0E12E180
	buffer_load_dwordx4 a[8:11], v26, s[20:23], 0 offen offset:2048// 000000006E34: E05C1800 8085081A
	v_mfma_f32_16x16x16_bf16 v[132:135], a[130:131], v[114:115], v[132:135]// 000000006E3C: D3E10084 0E12E582
	v_mfma_f32_16x16x16_bf16 v[132:135], a[132:133], v[116:117], v[132:135]// 000000006E44: D3E10084 0E12E984
	buffer_load_dword v12, s[16:19], 0 offen lds               // 000000006E4C: E0511000 8004000C
	s_add_u32 m0, 0x300, s37                                   // 000000006E54: 807C25FF 00000300
	v_mfma_f32_16x16x16_bf16 v[132:135], a[134:135], v[118:119], v[132:135]// 000000006E5C: D3E10084 0E12ED86
	v_mfma_f32_16x16x16_bf16 v[132:135], a[136:137], v[120:121], v[132:135]// 000000006E64: D3E10084 0E12F188
	buffer_load_dwordx4 a[12:15], v26, s[20:23], 0 offen offset:3072// 000000006E6C: E05C1C00 80850C1A
	v_mfma_f32_16x16x16_bf16 v[132:135], a[138:139], v[122:123], v[132:135]// 000000006E74: D3E10084 0E12F58A
	v_mfma_f32_16x16x16_bf16 v[132:135], a[140:141], v[124:125], v[132:135]// 000000006E7C: D3E10084 0E12F98C
	buffer_load_dword v13, s[16:19], 0 offen lds               // 000000006E84: E0511000 8004000D
	s_add_u32 m0, 0x400, s37                                   // 000000006E8C: 807C25FF 00000400
	v_mfma_f32_16x16x16_bf16 v[132:135], a[142:143], v[126:127], v[132:135]// 000000006E94: D3E10084 0E12FD8E
	v_mfma_f32_16x16x16_bf16 v[136:139], a[144:145], v[96:97], v[136:139]// 000000006E9C: D3E10088 0E22C190
	buffer_load_dwordx4 a[16:19], v27, s[20:23], 0 offen       // 000000006EA4: E05C1000 8085101B
	v_mfma_f32_16x16x16_bf16 v[136:139], a[146:147], v[98:99], v[136:139]// 000000006EAC: D3E10088 0E22C592
	v_mfma_f32_16x16x16_bf16 v[136:139], a[148:149], v[100:101], v[136:139]// 000000006EB4: D3E10088 0E22C994
	buffer_load_dword v14, s[16:19], 0 offen lds               // 000000006EBC: E0511000 8004000E
	s_add_u32 m0, 0x500, s37                                   // 000000006EC4: 807C25FF 00000500
	v_mfma_f32_16x16x16_bf16 v[136:139], a[150:151], v[102:103], v[136:139]// 000000006ECC: D3E10088 0E22CD96
	v_mfma_f32_16x16x16_bf16 v[136:139], a[152:153], v[104:105], v[136:139]// 000000006ED4: D3E10088 0E22D198
	buffer_load_dwordx4 a[20:23], v27, s[20:23], 0 offen offset:1024// 000000006EDC: E05C1400 8085141B
	v_mfma_f32_16x16x16_bf16 v[136:139], a[154:155], v[106:107], v[136:139]// 000000006EE4: D3E10088 0E22D59A
	v_mfma_f32_16x16x16_bf16 v[136:139], a[156:157], v[108:109], v[136:139]// 000000006EEC: D3E10088 0E22D99C
	buffer_load_dword v15, s[16:19], 0 offen lds               // 000000006EF4: E0511000 8004000F
	s_add_u32 m0, 0x600, s37                                   // 000000006EFC: 807C25FF 00000600
	v_mfma_f32_16x16x16_bf16 v[136:139], a[158:159], v[110:111], v[136:139]// 000000006F04: D3E10088 0E22DD9E
	v_mfma_f32_16x16x16_bf16 v[140:143], a[144:145], v[112:113], v[140:143]// 000000006F0C: D3E1008C 0E32E190
	buffer_load_dwordx4 a[24:27], v27, s[20:23], 0 offen offset:2048// 000000006F14: E05C1800 8085181B
	v_mfma_f32_16x16x16_bf16 v[140:143], a[146:147], v[114:115], v[140:143]// 000000006F1C: D3E1008C 0E32E592
	v_mfma_f32_16x16x16_bf16 v[140:143], a[148:149], v[116:117], v[140:143]// 000000006F24: D3E1008C 0E32E994
	buffer_load_dword v16, s[16:19], 0 offen lds               // 000000006F2C: E0511000 80040010
	s_add_u32 m0, 0x700, s37                                   // 000000006F34: 807C25FF 00000700
	v_mfma_f32_16x16x16_bf16 v[140:143], a[150:151], v[118:119], v[140:143]// 000000006F3C: D3E1008C 0E32ED96
	v_mfma_f32_16x16x16_bf16 v[140:143], a[152:153], v[120:121], v[140:143]// 000000006F44: D3E1008C 0E32F198
	buffer_load_dwordx4 a[28:31], v27, s[20:23], 0 offen offset:3072// 000000006F4C: E05C1C00 80851C1B
	v_mfma_f32_16x16x16_bf16 v[140:143], a[154:155], v[122:123], v[140:143]// 000000006F54: D3E1008C 0E32F59A
	v_mfma_f32_16x16x16_bf16 v[140:143], a[156:157], v[124:125], v[140:143]// 000000006F5C: D3E1008C 0E32F99C
	buffer_load_dword v17, s[16:19], 0 offen lds               // 000000006F64: E0511000 80040011
	s_add_u32 m0, 0, s36                                       // 000000006F6C: 807C2480
	v_mfma_f32_16x16x16_bf16 v[140:143], a[158:159], v[126:127], v[140:143]// 000000006F70: D3E1008C 0E32FD9E
	s_waitcnt vmcnt(32)                                        // 000000006F78: BF8C8F70
	v_mfma_f32_16x16x16_bf16 v[144:147], a[160:161], v[96:97], v[144:147]// 000000006F7C: D3E10090 0E42C1A0
	buffer_load_dwordx4 a[32:35], v28, s[20:23], 0 offen       // 000000006F84: E05C1000 8085201C
	v_mfma_f32_16x16x16_bf16 v[144:147], a[162:163], v[98:99], v[144:147]// 000000006F8C: D3E10090 0E42C5A2
	v_mfma_f32_16x16x16_bf16 v[144:147], a[164:165], v[100:101], v[144:147]// 000000006F94: D3E10090 0E42C9A4
	ds_read_b128 v[64:67], v2                                  // 000000006F9C: D9FE0000 40000002
	v_mfma_f32_16x16x16_bf16 v[144:147], a[166:167], v[102:103], v[144:147]// 000000006FA4: D3E10090 0E42CDA6
	v_mfma_f32_16x16x16_bf16 v[144:147], a[168:169], v[104:105], v[144:147]// 000000006FAC: D3E10090 0E42D1A8
	buffer_load_dwordx4 a[36:39], v28, s[20:23], 0 offen offset:1024// 000000006FB4: E05C1400 8085241C
	v_mfma_f32_16x16x16_bf16 v[144:147], a[170:171], v[106:107], v[144:147]// 000000006FBC: D3E10090 0E42D5AA
	v_mfma_f32_16x16x16_bf16 v[144:147], a[172:173], v[108:109], v[144:147]// 000000006FC4: D3E10090 0E42D9AC
	ds_read_b128 v[68:71], v2 offset:64                        // 000000006FCC: D9FE0040 44000002
	v_mfma_f32_16x16x16_bf16 v[144:147], a[174:175], v[110:111], v[144:147]// 000000006FD4: D3E10090 0E42DDAE
	v_mfma_f32_16x16x16_bf16 v[148:151], a[160:161], v[112:113], v[148:151]// 000000006FDC: D3E10094 0E52E1A0
	buffer_load_dwordx4 a[40:43], v28, s[20:23], 0 offen offset:2048// 000000006FE4: E05C1800 8085281C
	v_mfma_f32_16x16x16_bf16 v[148:151], a[162:163], v[114:115], v[148:151]// 000000006FEC: D3E10094 0E52E5A2
	v_mfma_f32_16x16x16_bf16 v[148:151], a[164:165], v[116:117], v[148:151]// 000000006FF4: D3E10094 0E52E9A4
	ds_read_b128 v[72:75], v2 offset:128                       // 000000006FFC: D9FE0080 48000002
	v_mfma_f32_16x16x16_bf16 v[148:151], a[166:167], v[118:119], v[148:151]// 000000007004: D3E10094 0E52EDA6
	v_mfma_f32_16x16x16_bf16 v[148:151], a[168:169], v[120:121], v[148:151]// 00000000700C: D3E10094 0E52F1A8
	buffer_load_dwordx4 a[44:47], v28, s[20:23], 0 offen offset:3072// 000000007014: E05C1C00 80852C1C
	v_mfma_f32_16x16x16_bf16 v[148:151], a[170:171], v[122:123], v[148:151]// 00000000701C: D3E10094 0E52F5AA
	v_mfma_f32_16x16x16_bf16 v[148:151], a[172:173], v[124:125], v[148:151]// 000000007024: D3E10094 0E52F9AC
	ds_read_b128 v[76:79], v2 offset:192                       // 00000000702C: D9FE00C0 4C000002
	v_mfma_f32_16x16x16_bf16 v[148:151], a[174:175], v[126:127], v[148:151]// 000000007034: D3E10094 0E52FDAE
	v_mfma_f32_16x16x16_bf16 v[152:155], a[176:177], v[96:97], v[152:155]// 00000000703C: D3E10098 0E62C1B0
	buffer_load_dwordx4 a[48:51], v29, s[20:23], 0 offen       // 000000007044: E05C1000 8085301D
	v_mfma_f32_16x16x16_bf16 v[152:155], a[178:179], v[98:99], v[152:155]// 00000000704C: D3E10098 0E62C5B2
	v_mfma_f32_16x16x16_bf16 v[152:155], a[180:181], v[100:101], v[152:155]// 000000007054: D3E10098 0E62C9B4
	ds_read_b128 v[80:83], v2 offset:1024                      // 00000000705C: D9FE0400 50000002
	v_mfma_f32_16x16x16_bf16 v[152:155], a[182:183], v[102:103], v[152:155]// 000000007064: D3E10098 0E62CDB6
	v_mfma_f32_16x16x16_bf16 v[152:155], a[184:185], v[104:105], v[152:155]// 00000000706C: D3E10098 0E62D1B8
	buffer_load_dwordx4 a[52:55], v29, s[20:23], 0 offen offset:1024// 000000007074: E05C1400 8085341D
	v_mfma_f32_16x16x16_bf16 v[152:155], a[186:187], v[106:107], v[152:155]// 00000000707C: D3E10098 0E62D5BA
	v_mfma_f32_16x16x16_bf16 v[152:155], a[188:189], v[108:109], v[152:155]// 000000007084: D3E10098 0E62D9BC
	ds_read_b128 v[84:87], v2 offset:1088                      // 00000000708C: D9FE0440 54000002
	v_mfma_f32_16x16x16_bf16 v[152:155], a[190:191], v[110:111], v[152:155]// 000000007094: D3E10098 0E62DDBE
	v_mfma_f32_16x16x16_bf16 v[156:159], a[176:177], v[112:113], v[156:159]// 00000000709C: D3E1009C 0E72E1B0
	buffer_load_dwordx4 a[56:59], v29, s[20:23], 0 offen offset:2048// 0000000070A4: E05C1800 8085381D
	v_mfma_f32_16x16x16_bf16 v[156:159], a[178:179], v[114:115], v[156:159]// 0000000070AC: D3E1009C 0E72E5B2
	v_mfma_f32_16x16x16_bf16 v[156:159], a[180:181], v[116:117], v[156:159]// 0000000070B4: D3E1009C 0E72E9B4
	ds_read_b128 v[88:91], v2 offset:1152                      // 0000000070BC: D9FE0480 58000002
	v_mfma_f32_16x16x16_bf16 v[156:159], a[182:183], v[118:119], v[156:159]// 0000000070C4: D3E1009C 0E72EDB6
	v_mfma_f32_16x16x16_bf16 v[156:159], a[184:185], v[120:121], v[156:159]// 0000000070CC: D3E1009C 0E72F1B8
	buffer_load_dwordx4 a[60:63], v29, s[20:23], 0 offen offset:3072// 0000000070D4: E05C1C00 80853C1D
	v_mfma_f32_16x16x16_bf16 v[156:159], a[186:187], v[122:123], v[156:159]// 0000000070DC: D3E1009C 0E72F5BA
	v_mfma_f32_16x16x16_bf16 v[156:159], a[188:189], v[124:125], v[156:159]// 0000000070E4: D3E1009C 0E72F9BC
	ds_read_b128 v[92:95], v2 offset:1216                      // 0000000070EC: D9FE04C0 5C000002
	v_mfma_f32_16x16x16_bf16 v[156:159], a[190:191], v[126:127], v[156:159]// 0000000070F4: D3E1009C 0E72FDBE
	s_waitcnt vmcnt(32)                                        // 0000000070FC: BF8C8F70
	v_mfma_f32_16x16x16_bf16 v[160:163], a[192:193], v[96:97], v[160:163]// 000000007100: D3E100A0 0E82C1C0
	buffer_load_dwordx4 a[64:67], v30, s[20:23], 0 offen       // 000000007108: E05C1000 8085401E
	v_mfma_f32_16x16x16_bf16 v[160:163], a[194:195], v[98:99], v[160:163]// 000000007110: D3E100A0 0E82C5C2
	v_mfma_f32_16x16x16_bf16 v[160:163], a[196:197], v[100:101], v[160:163]// 000000007118: D3E100A0 0E82C9C4
	s_add_u32 s60, 0x180, s80                                  // 000000007120: 803C50FF 00000180
	s_cmp_lt_u32 s60, s81                                      // 000000007128: BF0A513C
	s_cselect_b32 s57, s57, 0                                  // 00000000712C: 85398039
	v_mfma_f32_16x16x16_bf16 v[160:163], a[198:199], v[102:103], v[160:163]// 000000007130: D3E100A0 0E82CDC6
	v_mfma_f32_16x16x16_bf16 v[160:163], a[200:201], v[104:105], v[160:163]// 000000007138: D3E100A0 0E82D1C8
	buffer_load_dwordx4 a[68:71], v30, s[20:23], 0 offen offset:1024// 000000007140: E05C1400 8085441E
	v_mfma_f32_16x16x16_bf16 v[160:163], a[202:203], v[106:107], v[160:163]// 000000007148: D3E100A0 0E82D5CA
	v_mfma_f32_16x16x16_bf16 v[160:163], a[204:205], v[108:109], v[160:163]// 000000007150: D3E100A0 0E82D9CC
	s_add_u32 s60, 0x100, s80                                  // 000000007158: 803C50FF 00000100
	s_cmp_lt_u32 s60, s81                                      // 000000007160: BF0A513C
	s_cselect_b32 s58, s58, 0                                  // 000000007164: 853A803A
	v_mfma_f32_16x16x16_bf16 v[160:163], a[206:207], v[110:111], v[160:163]// 000000007168: D3E100A0 0E82DDCE
	v_mfma_f32_16x16x16_bf16 v[164:167], a[192:193], v[112:113], v[164:167]// 000000007170: D3E100A4 0E92E1C0
	buffer_load_dwordx4 a[72:75], v30, s[20:23], 0 offen offset:2048// 000000007178: E05C1800 8085481E
	v_mfma_f32_16x16x16_bf16 v[164:167], a[194:195], v[114:115], v[164:167]// 000000007180: D3E100A4 0E92E5C2
	v_mfma_f32_16x16x16_bf16 v[164:167], a[196:197], v[116:117], v[164:167]// 000000007188: D3E100A4 0E92E9C4
	s_add_u32 s16, s57, s16                                    // 000000007190: 80101039
	s_addc_u32 s17, 0, s17                                     // 000000007194: 82111180
	v_mfma_f32_16x16x16_bf16 v[164:167], a[198:199], v[118:119], v[164:167]// 000000007198: D3E100A4 0E92EDC6
	v_mfma_f32_16x16x16_bf16 v[164:167], a[200:201], v[120:121], v[164:167]// 0000000071A0: D3E100A4 0E92F1C8
	buffer_load_dwordx4 a[76:79], v30, s[20:23], 0 offen offset:3072// 0000000071A8: E05C1C00 80854C1E
	v_mfma_f32_16x16x16_bf16 v[164:167], a[202:203], v[122:123], v[164:167]// 0000000071B0: D3E100A4 0E92F5CA
	v_mfma_f32_16x16x16_bf16 v[164:167], a[204:205], v[124:125], v[164:167]// 0000000071B8: D3E100A4 0E92F9CC
	v_mfma_f32_16x16x16_bf16 v[164:167], a[206:207], v[126:127], v[164:167]// 0000000071C0: D3E100A4 0E92FDCE
	v_mfma_f32_16x16x16_bf16 v[168:171], a[208:209], v[96:97], v[168:171]// 0000000071C8: D3E100A8 0EA2C1D0
	buffer_load_dwordx4 a[80:83], v31, s[20:23], 0 offen       // 0000000071D0: E05C1000 8085501F
	v_mfma_f32_16x16x16_bf16 v[168:171], a[210:211], v[98:99], v[168:171]// 0000000071D8: D3E100A8 0EA2C5D2
	v_mfma_f32_16x16x16_bf16 v[168:171], a[212:213], v[100:101], v[168:171]// 0000000071E0: D3E100A8 0EA2C9D4
	v_mfma_f32_16x16x16_bf16 v[168:171], a[214:215], v[102:103], v[168:171]// 0000000071E8: D3E100A8 0EA2CDD6
	v_mfma_f32_16x16x16_bf16 v[168:171], a[216:217], v[104:105], v[168:171]// 0000000071F0: D3E100A8 0EA2D1D8
	buffer_load_dwordx4 a[84:87], v31, s[20:23], 0 offen offset:1024// 0000000071F8: E05C1400 8085541F
	v_mfma_f32_16x16x16_bf16 v[168:171], a[218:219], v[106:107], v[168:171]// 000000007200: D3E100A8 0EA2D5DA
	v_mfma_f32_16x16x16_bf16 v[168:171], a[220:221], v[108:109], v[168:171]// 000000007208: D3E100A8 0EA2D9DC
	v_mfma_f32_16x16x16_bf16 v[168:171], a[222:223], v[110:111], v[168:171]// 000000007210: D3E100A8 0EA2DDDE
	v_mfma_f32_16x16x16_bf16 v[172:175], a[208:209], v[112:113], v[172:175]// 000000007218: D3E100AC 0EB2E1D0
	buffer_load_dwordx4 a[88:91], v31, s[20:23], 0 offen offset:2048// 000000007220: E05C1800 8085581F
	v_mfma_f32_16x16x16_bf16 v[172:175], a[210:211], v[114:115], v[172:175]// 000000007228: D3E100AC 0EB2E5D2
	v_mfma_f32_16x16x16_bf16 v[172:175], a[212:213], v[116:117], v[172:175]// 000000007230: D3E100AC 0EB2E9D4
	v_mfma_f32_16x16x16_bf16 v[172:175], a[214:215], v[118:119], v[172:175]// 000000007238: D3E100AC 0EB2EDD6
	v_mfma_f32_16x16x16_bf16 v[172:175], a[216:217], v[120:121], v[172:175]// 000000007240: D3E100AC 0EB2F1D8
	buffer_load_dwordx4 a[92:95], v31, s[20:23], 0 offen offset:3072// 000000007248: E05C1C00 80855C1F
	v_mfma_f32_16x16x16_bf16 v[172:175], a[218:219], v[122:123], v[172:175]// 000000007250: D3E100AC 0EB2F5DA
	v_mfma_f32_16x16x16_bf16 v[172:175], a[220:221], v[124:125], v[172:175]// 000000007258: D3E100AC 0EB2F9DC
	v_mfma_f32_16x16x16_bf16 v[172:175], a[222:223], v[126:127], v[172:175]// 000000007260: D3E100AC 0EB2FDDE
	s_waitcnt vmcnt(32)                                        // 000000007268: BF8C8F70
	v_mfma_f32_16x16x16_bf16 v[176:179], a[224:225], v[96:97], v[176:179]// 00000000726C: D3E100B0 0EC2C1E0
	buffer_load_dwordx4 a[96:99], v32, s[20:23], 0 offen       // 000000007274: E05C1000 80856020
	v_mfma_f32_16x16x16_bf16 v[176:179], a[226:227], v[98:99], v[176:179]// 00000000727C: D3E100B0 0EC2C5E2
	v_mfma_f32_16x16x16_bf16 v[176:179], a[228:229], v[100:101], v[176:179]// 000000007284: D3E100B0 0EC2C9E4
	v_mfma_f32_16x16x16_bf16 v[176:179], a[230:231], v[102:103], v[176:179]// 00000000728C: D3E100B0 0EC2CDE6
	v_mfma_f32_16x16x16_bf16 v[176:179], a[232:233], v[104:105], v[176:179]// 000000007294: D3E100B0 0EC2D1E8
	buffer_load_dwordx4 a[100:103], v32, s[20:23], 0 offen offset:1024// 00000000729C: E05C1400 80856420
	v_mfma_f32_16x16x16_bf16 v[176:179], a[234:235], v[106:107], v[176:179]// 0000000072A4: D3E100B0 0EC2D5EA
	v_mfma_f32_16x16x16_bf16 v[176:179], a[236:237], v[108:109], v[176:179]// 0000000072AC: D3E100B0 0EC2D9EC
	v_mfma_f32_16x16x16_bf16 v[176:179], a[238:239], v[110:111], v[176:179]// 0000000072B4: D3E100B0 0EC2DDEE
	v_mfma_f32_16x16x16_bf16 v[180:183], a[224:225], v[112:113], v[180:183]// 0000000072BC: D3E100B4 0ED2E1E0
	buffer_load_dwordx4 a[104:107], v32, s[20:23], 0 offen offset:2048// 0000000072C4: E05C1800 80856820
	v_mfma_f32_16x16x16_bf16 v[180:183], a[226:227], v[114:115], v[180:183]// 0000000072CC: D3E100B4 0ED2E5E2
	v_mfma_f32_16x16x16_bf16 v[180:183], a[228:229], v[116:117], v[180:183]// 0000000072D4: D3E100B4 0ED2E9E4
	v_mfma_f32_16x16x16_bf16 v[180:183], a[230:231], v[118:119], v[180:183]// 0000000072DC: D3E100B4 0ED2EDE6
	v_mfma_f32_16x16x16_bf16 v[180:183], a[232:233], v[120:121], v[180:183]// 0000000072E4: D3E100B4 0ED2F1E8
	buffer_load_dwordx4 a[108:111], v32, s[20:23], 0 offen offset:3072// 0000000072EC: E05C1C00 80856C20
	v_mfma_f32_16x16x16_bf16 v[180:183], a[234:235], v[122:123], v[180:183]// 0000000072F4: D3E100B4 0ED2F5EA
	v_mfma_f32_16x16x16_bf16 v[180:183], a[236:237], v[124:125], v[180:183]// 0000000072FC: D3E100B4 0ED2F9EC
	v_mfma_f32_16x16x16_bf16 v[180:183], a[238:239], v[126:127], v[180:183]// 000000007304: D3E100B4 0ED2FDEE
	v_mfma_f32_16x16x16_bf16 v[184:187], a[240:241], v[96:97], v[184:187]// 00000000730C: D3E100B8 0EE2C1F0
	buffer_load_dwordx4 a[112:115], v33, s[20:23], 0 offen     // 000000007314: E05C1000 80857021
	v_mfma_f32_16x16x16_bf16 v[184:187], a[242:243], v[98:99], v[184:187]// 00000000731C: D3E100B8 0EE2C5F2
	v_mfma_f32_16x16x16_bf16 v[184:187], a[244:245], v[100:101], v[184:187]// 000000007324: D3E100B8 0EE2C9F4
	v_mfma_f32_16x16x16_bf16 v[184:187], a[246:247], v[102:103], v[184:187]// 00000000732C: D3E100B8 0EE2CDF6
	v_mfma_f32_16x16x16_bf16 v[184:187], a[248:249], v[104:105], v[184:187]// 000000007334: D3E100B8 0EE2D1F8
	buffer_load_dwordx4 a[116:119], v33, s[20:23], 0 offen offset:1024// 00000000733C: E05C1400 80857421
	v_mfma_f32_16x16x16_bf16 v[184:187], a[250:251], v[106:107], v[184:187]// 000000007344: D3E100B8 0EE2D5FA
	v_mfma_f32_16x16x16_bf16 v[184:187], a[252:253], v[108:109], v[184:187]// 00000000734C: D3E100B8 0EE2D9FC
	v_mfma_f32_16x16x16_bf16 v[184:187], a[254:255], v[110:111], v[184:187]// 000000007354: D3E100B8 0EE2DDFE
	v_mfma_f32_16x16x16_bf16 v[188:191], a[240:241], v[112:113], v[188:191]// 00000000735C: D3E100BC 0EF2E1F0
	buffer_load_dwordx4 a[120:123], v33, s[20:23], 0 offen offset:2048// 000000007364: E05C1800 80857821
	v_mfma_f32_16x16x16_bf16 v[188:191], a[242:243], v[114:115], v[188:191]// 00000000736C: D3E100BC 0EF2E5F2
	v_mfma_f32_16x16x16_bf16 v[188:191], a[244:245], v[116:117], v[188:191]// 000000007374: D3E100BC 0EF2E9F4
	v_mfma_f32_16x16x16_bf16 v[188:191], a[246:247], v[118:119], v[188:191]// 00000000737C: D3E100BC 0EF2EDF6
	v_mfma_f32_16x16x16_bf16 v[188:191], a[248:249], v[120:121], v[188:191]// 000000007384: D3E100BC 0EF2F1F8
	buffer_load_dwordx4 a[124:127], v33, s[20:23], 0 offen offset:3072// 00000000738C: E05C1C00 80857C21
	v_mfma_f32_16x16x16_bf16 v[188:191], a[250:251], v[122:123], v[188:191]// 000000007394: D3E100BC 0EF2F5FA
	v_mfma_f32_16x16x16_bf16 v[188:191], a[252:253], v[124:125], v[188:191]// 00000000739C: D3E100BC 0EF2F9FC
	s_add_u32 s20, s58, s20                                    // 0000000073A4: 8014143A
	s_addc_u32 s21, 0, s21                                     // 0000000073A8: 82151580
	v_mfma_f32_16x16x16_bf16 v[188:191], a[254:255], v[126:127], v[188:191]// 0000000073AC: D3E100BC 0EF2FDFE
	s_addk_i32 s80, 0x80                                       // 0000000073B4: B7500080
	s_cmp_lt_i32 s80, s81                                      // 0000000073B8: BF045150
	s_cbranch_scc0 label_1171                                  // 0000000073BC: BF840001
	s_branch label_0E6A                                        // 0000000073C0: BF82FCF9

00000000000073c4 <label_1171>:
	s_mov_b32 s38, -1                                          // 0000000073C4: BEA600C1
	s_mov_b32 s39, -1                                          // 0000000073C8: BEA700C1
	s_mov_b64 s[60:61], 0                                      // 0000000073CC: BEBC0180
	s_cmp_lt_u32 s82, s66                                      // 0000000073D0: BF0A4252
	s_cselect_b64 s[16:17], s[38:39], s[60:61]                 // 0000000073D4: 85903C26
	s_cmp_lt_u32 s83, s66                                      // 0000000073D8: BF0A4253
	s_cselect_b64 s[18:19], s[38:39], s[60:61]                 // 0000000073DC: 85923C26
	s_cmp_lt_u32 s84, s66                                      // 0000000073E0: BF0A4254
	s_cselect_b64 s[20:21], s[38:39], s[60:61]                 // 0000000073E4: 85943C26
	s_cmp_lt_u32 s85, s66                                      // 0000000073E8: BF0A4255
	s_cselect_b64 s[22:23], s[38:39], s[60:61]                 // 0000000073EC: 85963C26
	s_cmp_lt_u32 s86, s66                                      // 0000000073F0: BF0A4256
	s_cselect_b64 s[24:25], s[38:39], s[60:61]                 // 0000000073F4: 85983C26
	s_cmp_lt_u32 s87, s66                                      // 0000000073F8: BF0A4257
	s_cselect_b64 s[26:27], s[38:39], s[60:61]                 // 0000000073FC: 859A3C26
	s_cmp_lt_u32 s88, s66                                      // 000000007400: BF0A4258
	s_cselect_b64 s[28:29], s[38:39], s[60:61]                 // 000000007404: 859C3C26
	s_cmp_lt_u32 s89, s66                                      // 000000007408: BF0A4259
	s_cselect_b64 s[30:31], s[38:39], s[60:61]                 // 00000000740C: 859E3C26
	s_waitcnt vmcnt(24)                                        // 000000007410: BF8C4F78
	buffer_load_dwordx4 a[0:3], v18, s[12:15], 0 offen         // 000000007414: E05C1000 80830012
	v_mul_f32_e32 v54, v128, v128                              // 00000000741C: 0A6D0180
	v_mul_f32_e32 v55, v129, v129                              // 000000007420: 0A6F0381
	v_mul_f32_e32 v56, v130, v130                              // 000000007424: 0A710582
	v_mul_f32_e32 v57, v131, v131                              // 000000007428: 0A730783
	v_fma_f32 v54, v54, s77, v5                                // 00000000742C: D1CB0036 04149B36
	v_fma_f32 v55, v55, s77, v5                                // 000000007434: D1CB0037 04149B37
	v_fma_f32 v56, v56, s77, v5                                // 00000000743C: D1CB0038 04149B38
	v_fma_f32 v57, v57, s77, v5                                // 000000007444: D1CB0039 04149B39
	v_mul_f32_e32 v54, v54, v128                               // 00000000744C: 0A6D0136
	v_mul_f32_e32 v55, v55, v129                               // 000000007450: 0A6F0337
	v_mul_f32_e32 v56, v56, v130                               // 000000007454: 0A710538
	v_mul_f32_e32 v57, v57, v131                               // 000000007458: 0A730739
	v_mul_f32_e64 v54, v54, s6                                 // 00000000745C: D1050036 00000D36
	v_mul_f32_e64 v55, v55, s6                                 // 000000007464: D1050037 00000D37
	v_mul_f32_e64 v56, v56, s6                                 // 00000000746C: D1050038 00000D38
	v_mul_f32_e64 v57, v57, s6                                 // 000000007474: D1050039 00000D39
	v_exp_f32_e32 v54, v54                                     // 00000000747C: 7E6C4136
	v_exp_f32_e32 v55, v55                                     // 000000007480: 7E6E4137
	v_exp_f32_e32 v56, v56                                     // 000000007484: 7E704138
	v_exp_f32_e32 v57, v57                                     // 000000007488: 7E724139
	buffer_load_dwordx4 a[4:7], v18, s[12:15], 0 offen offset:1024// 00000000748C: E05C1400 80830412
	v_add_f32_e64 v54, v54, 1.0                                // 000000007494: D1010036 0001E536
	v_add_f32_e64 v55, v55, 1.0                                // 00000000749C: D1010037 0001E537
	v_add_f32_e64 v56, v56, 1.0                                // 0000000074A4: D1010038 0001E538
	v_add_f32_e64 v57, v57, 1.0                                // 0000000074AC: D1010039 0001E539
	v_rcp_f32_e32 v54, v54                                     // 0000000074B4: 7E6C4536
	v_rcp_f32_e32 v55, v55                                     // 0000000074B8: 7E6E4537
	v_rcp_f32_e32 v56, v56                                     // 0000000074BC: 7E704538
	v_rcp_f32_e32 v57, v57                                     // 0000000074C0: 7E724539
	v_mul_f32_e32 v128, v128, v54                              // 0000000074C4: 0B006D80
	v_mul_f32_e32 v129, v129, v55                              // 0000000074C8: 0B026F81
	v_mul_f32_e32 v130, v130, v56                              // 0000000074CC: 0B047182
	v_mul_f32_e32 v131, v131, v57                              // 0000000074D0: 0B067383
	buffer_load_dwordx4 a[8:11], v18, s[12:15], 0 offen offset:2048// 0000000074D4: E05C1800 80830812
	v_mul_f32_e32 v54, v132, v132                              // 0000000074DC: 0A6D0984
	v_mul_f32_e32 v55, v133, v133                              // 0000000074E0: 0A6F0B85
	v_mul_f32_e32 v56, v134, v134                              // 0000000074E4: 0A710D86
	v_mul_f32_e32 v57, v135, v135                              // 0000000074E8: 0A730F87
	v_fma_f32 v54, v54, s77, v5                                // 0000000074EC: D1CB0036 04149B36
	v_fma_f32 v55, v55, s77, v5                                // 0000000074F4: D1CB0037 04149B37
	v_fma_f32 v56, v56, s77, v5                                // 0000000074FC: D1CB0038 04149B38
	v_fma_f32 v57, v57, s77, v5                                // 000000007504: D1CB0039 04149B39
	v_mul_f32_e32 v54, v54, v132                               // 00000000750C: 0A6D0936
	v_mul_f32_e32 v55, v55, v133                               // 000000007510: 0A6F0B37
	v_mul_f32_e32 v56, v56, v134                               // 000000007514: 0A710D38
	v_mul_f32_e32 v57, v57, v135                               // 000000007518: 0A730F39
	v_mul_f32_e64 v54, v54, s6                                 // 00000000751C: D1050036 00000D36
	v_mul_f32_e64 v55, v55, s6                                 // 000000007524: D1050037 00000D37
	v_mul_f32_e64 v56, v56, s6                                 // 00000000752C: D1050038 00000D38
	v_mul_f32_e64 v57, v57, s6                                 // 000000007534: D1050039 00000D39
	v_exp_f32_e32 v54, v54                                     // 00000000753C: 7E6C4136
	v_exp_f32_e32 v55, v55                                     // 000000007540: 7E6E4137
	v_exp_f32_e32 v56, v56                                     // 000000007544: 7E704138
	v_exp_f32_e32 v57, v57                                     // 000000007548: 7E724139
	buffer_load_dwordx4 a[12:15], v18, s[12:15], 0 offen offset:3072// 00000000754C: E05C1C00 80830C12
	v_add_f32_e64 v54, v54, 1.0                                // 000000007554: D1010036 0001E536
	v_add_f32_e64 v55, v55, 1.0                                // 00000000755C: D1010037 0001E537
	v_add_f32_e64 v56, v56, 1.0                                // 000000007564: D1010038 0001E538
	v_add_f32_e64 v57, v57, 1.0                                // 00000000756C: D1010039 0001E539
	v_rcp_f32_e32 v54, v54                                     // 000000007574: 7E6C4536
	v_rcp_f32_e32 v55, v55                                     // 000000007578: 7E6E4537
	v_rcp_f32_e32 v56, v56                                     // 00000000757C: 7E704538
	v_rcp_f32_e32 v57, v57                                     // 000000007580: 7E724539
	v_mul_f32_e32 v132, v132, v54                              // 000000007584: 0B086D84
	v_mul_f32_e32 v133, v133, v55                              // 000000007588: 0B0A6F85
	v_mul_f32_e32 v134, v134, v56                              // 00000000758C: 0B0C7186
	v_mul_f32_e32 v135, v135, v57                              // 000000007590: 0B0E7387
	buffer_load_dwordx4 a[16:19], v19, s[12:15], 0 offen       // 000000007594: E05C1000 80831013
	v_mul_f32_e32 v54, v136, v136                              // 00000000759C: 0A6D1188
	v_mul_f32_e32 v55, v137, v137                              // 0000000075A0: 0A6F1389
	v_mul_f32_e32 v56, v138, v138                              // 0000000075A4: 0A71158A
	v_mul_f32_e32 v57, v139, v139                              // 0000000075A8: 0A73178B
	v_fma_f32 v54, v54, s77, v5                                // 0000000075AC: D1CB0036 04149B36
	v_fma_f32 v55, v55, s77, v5                                // 0000000075B4: D1CB0037 04149B37
	v_fma_f32 v56, v56, s77, v5                                // 0000000075BC: D1CB0038 04149B38
	v_fma_f32 v57, v57, s77, v5                                // 0000000075C4: D1CB0039 04149B39
	v_mul_f32_e32 v54, v54, v136                               // 0000000075CC: 0A6D1136
	v_mul_f32_e32 v55, v55, v137                               // 0000000075D0: 0A6F1337
	v_mul_f32_e32 v56, v56, v138                               // 0000000075D4: 0A711538
	v_mul_f32_e32 v57, v57, v139                               // 0000000075D8: 0A731739
	v_mul_f32_e64 v54, v54, s6                                 // 0000000075DC: D1050036 00000D36
	v_mul_f32_e64 v55, v55, s6                                 // 0000000075E4: D1050037 00000D37
	v_mul_f32_e64 v56, v56, s6                                 // 0000000075EC: D1050038 00000D38
	v_mul_f32_e64 v57, v57, s6                                 // 0000000075F4: D1050039 00000D39
	v_exp_f32_e32 v54, v54                                     // 0000000075FC: 7E6C4136
	v_exp_f32_e32 v55, v55                                     // 000000007600: 7E6E4137
	v_exp_f32_e32 v56, v56                                     // 000000007604: 7E704138
	v_exp_f32_e32 v57, v57                                     // 000000007608: 7E724139
	buffer_load_dwordx4 a[20:23], v19, s[12:15], 0 offen offset:1024// 00000000760C: E05C1400 80831413
	v_add_f32_e64 v54, v54, 1.0                                // 000000007614: D1010036 0001E536
	v_add_f32_e64 v55, v55, 1.0                                // 00000000761C: D1010037 0001E537
	v_add_f32_e64 v56, v56, 1.0                                // 000000007624: D1010038 0001E538
	v_add_f32_e64 v57, v57, 1.0                                // 00000000762C: D1010039 0001E539
	v_rcp_f32_e32 v54, v54                                     // 000000007634: 7E6C4536
	v_rcp_f32_e32 v55, v55                                     // 000000007638: 7E6E4537
	v_rcp_f32_e32 v56, v56                                     // 00000000763C: 7E704538
	v_rcp_f32_e32 v57, v57                                     // 000000007640: 7E724539
	v_mul_f32_e32 v136, v136, v54                              // 000000007644: 0B106D88
	v_mul_f32_e32 v137, v137, v55                              // 000000007648: 0B126F89
	v_mul_f32_e32 v138, v138, v56                              // 00000000764C: 0B14718A
	v_mul_f32_e32 v139, v139, v57                              // 000000007650: 0B16738B
	buffer_load_dwordx4 a[24:27], v19, s[12:15], 0 offen offset:2048// 000000007654: E05C1800 80831813
	v_mul_f32_e32 v54, v140, v140                              // 00000000765C: 0A6D198C
	v_mul_f32_e32 v55, v141, v141                              // 000000007660: 0A6F1B8D
	v_mul_f32_e32 v56, v142, v142                              // 000000007664: 0A711D8E
	v_mul_f32_e32 v57, v143, v143                              // 000000007668: 0A731F8F
	v_fma_f32 v54, v54, s77, v5                                // 00000000766C: D1CB0036 04149B36
	v_fma_f32 v55, v55, s77, v5                                // 000000007674: D1CB0037 04149B37
	v_fma_f32 v56, v56, s77, v5                                // 00000000767C: D1CB0038 04149B38
	v_fma_f32 v57, v57, s77, v5                                // 000000007684: D1CB0039 04149B39
	v_mul_f32_e32 v54, v54, v140                               // 00000000768C: 0A6D1936
	v_mul_f32_e32 v55, v55, v141                               // 000000007690: 0A6F1B37
	v_mul_f32_e32 v56, v56, v142                               // 000000007694: 0A711D38
	v_mul_f32_e32 v57, v57, v143                               // 000000007698: 0A731F39
	v_mul_f32_e64 v54, v54, s6                                 // 00000000769C: D1050036 00000D36
	v_mul_f32_e64 v55, v55, s6                                 // 0000000076A4: D1050037 00000D37
	v_mul_f32_e64 v56, v56, s6                                 // 0000000076AC: D1050038 00000D38
	v_mul_f32_e64 v57, v57, s6                                 // 0000000076B4: D1050039 00000D39
	v_exp_f32_e32 v54, v54                                     // 0000000076BC: 7E6C4136
	v_exp_f32_e32 v55, v55                                     // 0000000076C0: 7E6E4137
	v_exp_f32_e32 v56, v56                                     // 0000000076C4: 7E704138
	v_exp_f32_e32 v57, v57                                     // 0000000076C8: 7E724139
	buffer_load_dwordx4 a[28:31], v19, s[12:15], 0 offen offset:3072// 0000000076CC: E05C1C00 80831C13
	v_add_f32_e64 v54, v54, 1.0                                // 0000000076D4: D1010036 0001E536
	v_add_f32_e64 v55, v55, 1.0                                // 0000000076DC: D1010037 0001E537
	v_add_f32_e64 v56, v56, 1.0                                // 0000000076E4: D1010038 0001E538
	v_add_f32_e64 v57, v57, 1.0                                // 0000000076EC: D1010039 0001E539
	v_rcp_f32_e32 v54, v54                                     // 0000000076F4: 7E6C4536
	v_rcp_f32_e32 v55, v55                                     // 0000000076F8: 7E6E4537
	v_rcp_f32_e32 v56, v56                                     // 0000000076FC: 7E704538
	v_rcp_f32_e32 v57, v57                                     // 000000007700: 7E724539
	v_mul_f32_e32 v140, v140, v54                              // 000000007704: 0B186D8C
	v_mul_f32_e32 v141, v141, v55                              // 000000007708: 0B1A6F8D
	v_mul_f32_e32 v142, v142, v56                              // 00000000770C: 0B1C718E
	v_mul_f32_e32 v143, v143, v57                              // 000000007710: 0B1E738F
	s_waitcnt vmcnt(24)                                        // 000000007714: BF8C4F78
	buffer_load_dwordx4 a[32:35], v20, s[12:15], 0 offen       // 000000007718: E05C1000 80832014
	v_mul_f32_e32 v54, v144, v144                              // 000000007720: 0A6D2190
	v_mul_f32_e32 v55, v145, v145                              // 000000007724: 0A6F2391
	v_mul_f32_e32 v56, v146, v146                              // 000000007728: 0A712592
	v_mul_f32_e32 v57, v147, v147                              // 00000000772C: 0A732793
	v_fma_f32 v54, v54, s77, v5                                // 000000007730: D1CB0036 04149B36
	v_fma_f32 v55, v55, s77, v5                                // 000000007738: D1CB0037 04149B37
	v_fma_f32 v56, v56, s77, v5                                // 000000007740: D1CB0038 04149B38
	v_fma_f32 v57, v57, s77, v5                                // 000000007748: D1CB0039 04149B39
	v_mul_f32_e32 v54, v54, v144                               // 000000007750: 0A6D2136
	v_mul_f32_e32 v55, v55, v145                               // 000000007754: 0A6F2337
	v_mul_f32_e32 v56, v56, v146                               // 000000007758: 0A712538
	v_mul_f32_e32 v57, v57, v147                               // 00000000775C: 0A732739
	v_mul_f32_e64 v54, v54, s6                                 // 000000007760: D1050036 00000D36
	v_mul_f32_e64 v55, v55, s6                                 // 000000007768: D1050037 00000D37
	v_mul_f32_e64 v56, v56, s6                                 // 000000007770: D1050038 00000D38
	v_mul_f32_e64 v57, v57, s6                                 // 000000007778: D1050039 00000D39
	v_exp_f32_e32 v54, v54                                     // 000000007780: 7E6C4136
	v_exp_f32_e32 v55, v55                                     // 000000007784: 7E6E4137
	v_exp_f32_e32 v56, v56                                     // 000000007788: 7E704138
	v_exp_f32_e32 v57, v57                                     // 00000000778C: 7E724139
	buffer_load_dwordx4 a[36:39], v20, s[12:15], 0 offen offset:1024// 000000007790: E05C1400 80832414
	v_add_f32_e64 v54, v54, 1.0                                // 000000007798: D1010036 0001E536
	v_add_f32_e64 v55, v55, 1.0                                // 0000000077A0: D1010037 0001E537
	v_add_f32_e64 v56, v56, 1.0                                // 0000000077A8: D1010038 0001E538
	v_add_f32_e64 v57, v57, 1.0                                // 0000000077B0: D1010039 0001E539
	v_rcp_f32_e32 v54, v54                                     // 0000000077B8: 7E6C4536
	v_rcp_f32_e32 v55, v55                                     // 0000000077BC: 7E6E4537
	v_rcp_f32_e32 v56, v56                                     // 0000000077C0: 7E704538
	v_rcp_f32_e32 v57, v57                                     // 0000000077C4: 7E724539
	v_mul_f32_e32 v144, v144, v54                              // 0000000077C8: 0B206D90
	v_mul_f32_e32 v145, v145, v55                              // 0000000077CC: 0B226F91
	v_mul_f32_e32 v146, v146, v56                              // 0000000077D0: 0B247192
	v_mul_f32_e32 v147, v147, v57                              // 0000000077D4: 0B267393
	buffer_load_dwordx4 a[40:43], v20, s[12:15], 0 offen offset:2048// 0000000077D8: E05C1800 80832814
	v_mul_f32_e32 v54, v148, v148                              // 0000000077E0: 0A6D2994
	v_mul_f32_e32 v55, v149, v149                              // 0000000077E4: 0A6F2B95
	v_mul_f32_e32 v56, v150, v150                              // 0000000077E8: 0A712D96
	v_mul_f32_e32 v57, v151, v151                              // 0000000077EC: 0A732F97
	v_fma_f32 v54, v54, s77, v5                                // 0000000077F0: D1CB0036 04149B36
	v_fma_f32 v55, v55, s77, v5                                // 0000000077F8: D1CB0037 04149B37
	v_fma_f32 v56, v56, s77, v5                                // 000000007800: D1CB0038 04149B38
	v_fma_f32 v57, v57, s77, v5                                // 000000007808: D1CB0039 04149B39
	v_mul_f32_e32 v54, v54, v148                               // 000000007810: 0A6D2936
	v_mul_f32_e32 v55, v55, v149                               // 000000007814: 0A6F2B37
	v_mul_f32_e32 v56, v56, v150                               // 000000007818: 0A712D38
	v_mul_f32_e32 v57, v57, v151                               // 00000000781C: 0A732F39
	v_mul_f32_e64 v54, v54, s6                                 // 000000007820: D1050036 00000D36
	v_mul_f32_e64 v55, v55, s6                                 // 000000007828: D1050037 00000D37
	v_mul_f32_e64 v56, v56, s6                                 // 000000007830: D1050038 00000D38
	v_mul_f32_e64 v57, v57, s6                                 // 000000007838: D1050039 00000D39
	v_exp_f32_e32 v54, v54                                     // 000000007840: 7E6C4136
	v_exp_f32_e32 v55, v55                                     // 000000007844: 7E6E4137
	v_exp_f32_e32 v56, v56                                     // 000000007848: 7E704138
	v_exp_f32_e32 v57, v57                                     // 00000000784C: 7E724139
	buffer_load_dwordx4 a[44:47], v20, s[12:15], 0 offen offset:3072// 000000007850: E05C1C00 80832C14
	v_add_f32_e64 v54, v54, 1.0                                // 000000007858: D1010036 0001E536
	v_add_f32_e64 v55, v55, 1.0                                // 000000007860: D1010037 0001E537
	v_add_f32_e64 v56, v56, 1.0                                // 000000007868: D1010038 0001E538
	v_add_f32_e64 v57, v57, 1.0                                // 000000007870: D1010039 0001E539
	v_rcp_f32_e32 v54, v54                                     // 000000007878: 7E6C4536
	v_rcp_f32_e32 v55, v55                                     // 00000000787C: 7E6E4537
	v_rcp_f32_e32 v56, v56                                     // 000000007880: 7E704538
	v_rcp_f32_e32 v57, v57                                     // 000000007884: 7E724539
	v_mul_f32_e32 v148, v148, v54                              // 000000007888: 0B286D94
	v_mul_f32_e32 v149, v149, v55                              // 00000000788C: 0B2A6F95
	v_mul_f32_e32 v150, v150, v56                              // 000000007890: 0B2C7196
	v_mul_f32_e32 v151, v151, v57                              // 000000007894: 0B2E7397
	buffer_load_dwordx4 a[48:51], v21, s[12:15], 0 offen       // 000000007898: E05C1000 80833015
	v_mul_f32_e32 v54, v152, v152                              // 0000000078A0: 0A6D3198
	v_mul_f32_e32 v55, v153, v153                              // 0000000078A4: 0A6F3399
	v_mul_f32_e32 v56, v154, v154                              // 0000000078A8: 0A71359A
	v_mul_f32_e32 v57, v155, v155                              // 0000000078AC: 0A73379B
	v_fma_f32 v54, v54, s77, v5                                // 0000000078B0: D1CB0036 04149B36
	v_fma_f32 v55, v55, s77, v5                                // 0000000078B8: D1CB0037 04149B37
	v_fma_f32 v56, v56, s77, v5                                // 0000000078C0: D1CB0038 04149B38
	v_fma_f32 v57, v57, s77, v5                                // 0000000078C8: D1CB0039 04149B39
	v_mul_f32_e32 v54, v54, v152                               // 0000000078D0: 0A6D3136
	v_mul_f32_e32 v55, v55, v153                               // 0000000078D4: 0A6F3337
	v_mul_f32_e32 v56, v56, v154                               // 0000000078D8: 0A713538
	v_mul_f32_e32 v57, v57, v155                               // 0000000078DC: 0A733739
	v_mul_f32_e64 v54, v54, s6                                 // 0000000078E0: D1050036 00000D36
	v_mul_f32_e64 v55, v55, s6                                 // 0000000078E8: D1050037 00000D37
	v_mul_f32_e64 v56, v56, s6                                 // 0000000078F0: D1050038 00000D38
	v_mul_f32_e64 v57, v57, s6                                 // 0000000078F8: D1050039 00000D39
	v_exp_f32_e32 v54, v54                                     // 000000007900: 7E6C4136
	v_exp_f32_e32 v55, v55                                     // 000000007904: 7E6E4137
	v_exp_f32_e32 v56, v56                                     // 000000007908: 7E704138
	v_exp_f32_e32 v57, v57                                     // 00000000790C: 7E724139
	buffer_load_dwordx4 a[52:55], v21, s[12:15], 0 offen offset:1024// 000000007910: E05C1400 80833415
	v_add_f32_e64 v54, v54, 1.0                                // 000000007918: D1010036 0001E536
	v_add_f32_e64 v55, v55, 1.0                                // 000000007920: D1010037 0001E537
	v_add_f32_e64 v56, v56, 1.0                                // 000000007928: D1010038 0001E538
	v_add_f32_e64 v57, v57, 1.0                                // 000000007930: D1010039 0001E539
	v_rcp_f32_e32 v54, v54                                     // 000000007938: 7E6C4536
	v_rcp_f32_e32 v55, v55                                     // 00000000793C: 7E6E4537
	v_rcp_f32_e32 v56, v56                                     // 000000007940: 7E704538
	v_rcp_f32_e32 v57, v57                                     // 000000007944: 7E724539
	v_mul_f32_e32 v152, v152, v54                              // 000000007948: 0B306D98
	v_mul_f32_e32 v153, v153, v55                              // 00000000794C: 0B326F99
	v_mul_f32_e32 v154, v154, v56                              // 000000007950: 0B34719A
	v_mul_f32_e32 v155, v155, v57                              // 000000007954: 0B36739B
	buffer_load_dwordx4 a[56:59], v21, s[12:15], 0 offen offset:2048// 000000007958: E05C1800 80833815
	v_mul_f32_e32 v54, v156, v156                              // 000000007960: 0A6D399C
	v_mul_f32_e32 v55, v157, v157                              // 000000007964: 0A6F3B9D
	v_mul_f32_e32 v56, v158, v158                              // 000000007968: 0A713D9E
	v_mul_f32_e32 v57, v159, v159                              // 00000000796C: 0A733F9F
	v_fma_f32 v54, v54, s77, v5                                // 000000007970: D1CB0036 04149B36
	v_fma_f32 v55, v55, s77, v5                                // 000000007978: D1CB0037 04149B37
	v_fma_f32 v56, v56, s77, v5                                // 000000007980: D1CB0038 04149B38
	v_fma_f32 v57, v57, s77, v5                                // 000000007988: D1CB0039 04149B39
	v_mul_f32_e32 v54, v54, v156                               // 000000007990: 0A6D3936
	v_mul_f32_e32 v55, v55, v157                               // 000000007994: 0A6F3B37
	v_mul_f32_e32 v56, v56, v158                               // 000000007998: 0A713D38
	v_mul_f32_e32 v57, v57, v159                               // 00000000799C: 0A733F39
	v_mul_f32_e64 v54, v54, s6                                 // 0000000079A0: D1050036 00000D36
	v_mul_f32_e64 v55, v55, s6                                 // 0000000079A8: D1050037 00000D37
	v_mul_f32_e64 v56, v56, s6                                 // 0000000079B0: D1050038 00000D38
	v_mul_f32_e64 v57, v57, s6                                 // 0000000079B8: D1050039 00000D39
	v_exp_f32_e32 v54, v54                                     // 0000000079C0: 7E6C4136
	v_exp_f32_e32 v55, v55                                     // 0000000079C4: 7E6E4137
	v_exp_f32_e32 v56, v56                                     // 0000000079C8: 7E704138
	v_exp_f32_e32 v57, v57                                     // 0000000079CC: 7E724139
	buffer_load_dwordx4 a[60:63], v21, s[12:15], 0 offen offset:3072// 0000000079D0: E05C1C00 80833C15
	v_add_f32_e64 v54, v54, 1.0                                // 0000000079D8: D1010036 0001E536
	v_add_f32_e64 v55, v55, 1.0                                // 0000000079E0: D1010037 0001E537
	v_add_f32_e64 v56, v56, 1.0                                // 0000000079E8: D1010038 0001E538
	v_add_f32_e64 v57, v57, 1.0                                // 0000000079F0: D1010039 0001E539
	v_rcp_f32_e32 v54, v54                                     // 0000000079F8: 7E6C4536
	v_rcp_f32_e32 v55, v55                                     // 0000000079FC: 7E6E4537
	v_rcp_f32_e32 v56, v56                                     // 000000007A00: 7E704538
	v_rcp_f32_e32 v57, v57                                     // 000000007A04: 7E724539
	v_mul_f32_e32 v156, v156, v54                              // 000000007A08: 0B386D9C
	v_mul_f32_e32 v157, v157, v55                              // 000000007A0C: 0B3A6F9D
	v_mul_f32_e32 v158, v158, v56                              // 000000007A10: 0B3C719E
	v_mul_f32_e32 v159, v159, v57                              // 000000007A14: 0B3E739F
	s_waitcnt vmcnt(24)                                        // 000000007A18: BF8C4F78
	buffer_load_dwordx4 a[64:67], v22, s[12:15], 0 offen       // 000000007A1C: E05C1000 80834016
	v_mul_f32_e32 v54, v160, v160                              // 000000007A24: 0A6D41A0
	v_mul_f32_e32 v55, v161, v161                              // 000000007A28: 0A6F43A1
	v_mul_f32_e32 v56, v162, v162                              // 000000007A2C: 0A7145A2
	v_mul_f32_e32 v57, v163, v163                              // 000000007A30: 0A7347A3
	v_fma_f32 v54, v54, s77, v5                                // 000000007A34: D1CB0036 04149B36
	v_fma_f32 v55, v55, s77, v5                                // 000000007A3C: D1CB0037 04149B37
	v_fma_f32 v56, v56, s77, v5                                // 000000007A44: D1CB0038 04149B38
	v_fma_f32 v57, v57, s77, v5                                // 000000007A4C: D1CB0039 04149B39
	v_mul_f32_e32 v54, v54, v160                               // 000000007A54: 0A6D4136
	v_mul_f32_e32 v55, v55, v161                               // 000000007A58: 0A6F4337
	v_mul_f32_e32 v56, v56, v162                               // 000000007A5C: 0A714538
	v_mul_f32_e32 v57, v57, v163                               // 000000007A60: 0A734739
	v_mul_f32_e64 v54, v54, s6                                 // 000000007A64: D1050036 00000D36
	v_mul_f32_e64 v55, v55, s6                                 // 000000007A6C: D1050037 00000D37
	v_mul_f32_e64 v56, v56, s6                                 // 000000007A74: D1050038 00000D38
	v_mul_f32_e64 v57, v57, s6                                 // 000000007A7C: D1050039 00000D39
	v_exp_f32_e32 v54, v54                                     // 000000007A84: 7E6C4136
	v_exp_f32_e32 v55, v55                                     // 000000007A88: 7E6E4137
	v_exp_f32_e32 v56, v56                                     // 000000007A8C: 7E704138
	v_exp_f32_e32 v57, v57                                     // 000000007A90: 7E724139
	buffer_load_dwordx4 a[68:71], v22, s[12:15], 0 offen offset:1024// 000000007A94: E05C1400 80834416
	v_add_f32_e64 v54, v54, 1.0                                // 000000007A9C: D1010036 0001E536
	v_add_f32_e64 v55, v55, 1.0                                // 000000007AA4: D1010037 0001E537
	v_add_f32_e64 v56, v56, 1.0                                // 000000007AAC: D1010038 0001E538
	v_add_f32_e64 v57, v57, 1.0                                // 000000007AB4: D1010039 0001E539
	v_rcp_f32_e32 v54, v54                                     // 000000007ABC: 7E6C4536
	v_rcp_f32_e32 v55, v55                                     // 000000007AC0: 7E6E4537
	v_rcp_f32_e32 v56, v56                                     // 000000007AC4: 7E704538
	v_rcp_f32_e32 v57, v57                                     // 000000007AC8: 7E724539
	v_mul_f32_e32 v160, v160, v54                              // 000000007ACC: 0B406DA0
	v_mul_f32_e32 v161, v161, v55                              // 000000007AD0: 0B426FA1
	v_mul_f32_e32 v162, v162, v56                              // 000000007AD4: 0B4471A2
	v_mul_f32_e32 v163, v163, v57                              // 000000007AD8: 0B4673A3
	buffer_load_dwordx4 a[72:75], v22, s[12:15], 0 offen offset:2048// 000000007ADC: E05C1800 80834816
	v_mul_f32_e32 v54, v164, v164                              // 000000007AE4: 0A6D49A4
	v_mul_f32_e32 v55, v165, v165                              // 000000007AE8: 0A6F4BA5
	v_mul_f32_e32 v56, v166, v166                              // 000000007AEC: 0A714DA6
	v_mul_f32_e32 v57, v167, v167                              // 000000007AF0: 0A734FA7
	v_fma_f32 v54, v54, s77, v5                                // 000000007AF4: D1CB0036 04149B36
	v_fma_f32 v55, v55, s77, v5                                // 000000007AFC: D1CB0037 04149B37
	v_fma_f32 v56, v56, s77, v5                                // 000000007B04: D1CB0038 04149B38
	v_fma_f32 v57, v57, s77, v5                                // 000000007B0C: D1CB0039 04149B39
	v_mul_f32_e32 v54, v54, v164                               // 000000007B14: 0A6D4936
	v_mul_f32_e32 v55, v55, v165                               // 000000007B18: 0A6F4B37
	v_mul_f32_e32 v56, v56, v166                               // 000000007B1C: 0A714D38
	v_mul_f32_e32 v57, v57, v167                               // 000000007B20: 0A734F39
	v_mul_f32_e64 v54, v54, s6                                 // 000000007B24: D1050036 00000D36
	v_mul_f32_e64 v55, v55, s6                                 // 000000007B2C: D1050037 00000D37
	v_mul_f32_e64 v56, v56, s6                                 // 000000007B34: D1050038 00000D38
	v_mul_f32_e64 v57, v57, s6                                 // 000000007B3C: D1050039 00000D39
	v_exp_f32_e32 v54, v54                                     // 000000007B44: 7E6C4136
	v_exp_f32_e32 v55, v55                                     // 000000007B48: 7E6E4137
	v_exp_f32_e32 v56, v56                                     // 000000007B4C: 7E704138
	v_exp_f32_e32 v57, v57                                     // 000000007B50: 7E724139
	buffer_load_dwordx4 a[76:79], v22, s[12:15], 0 offen offset:3072// 000000007B54: E05C1C00 80834C16
	v_add_f32_e64 v54, v54, 1.0                                // 000000007B5C: D1010036 0001E536
	v_add_f32_e64 v55, v55, 1.0                                // 000000007B64: D1010037 0001E537
	v_add_f32_e64 v56, v56, 1.0                                // 000000007B6C: D1010038 0001E538
	v_add_f32_e64 v57, v57, 1.0                                // 000000007B74: D1010039 0001E539
	v_rcp_f32_e32 v54, v54                                     // 000000007B7C: 7E6C4536
	v_rcp_f32_e32 v55, v55                                     // 000000007B80: 7E6E4537
	v_rcp_f32_e32 v56, v56                                     // 000000007B84: 7E704538
	v_rcp_f32_e32 v57, v57                                     // 000000007B88: 7E724539
	v_mul_f32_e32 v164, v164, v54                              // 000000007B8C: 0B486DA4
	v_mul_f32_e32 v165, v165, v55                              // 000000007B90: 0B4A6FA5
	v_mul_f32_e32 v166, v166, v56                              // 000000007B94: 0B4C71A6
	v_mul_f32_e32 v167, v167, v57                              // 000000007B98: 0B4E73A7
	buffer_load_dwordx4 a[80:83], v23, s[12:15], 0 offen       // 000000007B9C: E05C1000 80835017
	v_mul_f32_e32 v54, v168, v168                              // 000000007BA4: 0A6D51A8
	v_mul_f32_e32 v55, v169, v169                              // 000000007BA8: 0A6F53A9
	v_mul_f32_e32 v56, v170, v170                              // 000000007BAC: 0A7155AA
	v_mul_f32_e32 v57, v171, v171                              // 000000007BB0: 0A7357AB
	v_fma_f32 v54, v54, s77, v5                                // 000000007BB4: D1CB0036 04149B36
	v_fma_f32 v55, v55, s77, v5                                // 000000007BBC: D1CB0037 04149B37
	v_fma_f32 v56, v56, s77, v5                                // 000000007BC4: D1CB0038 04149B38
	v_fma_f32 v57, v57, s77, v5                                // 000000007BCC: D1CB0039 04149B39
	v_mul_f32_e32 v54, v54, v168                               // 000000007BD4: 0A6D5136
	v_mul_f32_e32 v55, v55, v169                               // 000000007BD8: 0A6F5337
	v_mul_f32_e32 v56, v56, v170                               // 000000007BDC: 0A715538
	v_mul_f32_e32 v57, v57, v171                               // 000000007BE0: 0A735739
	v_mul_f32_e64 v54, v54, s6                                 // 000000007BE4: D1050036 00000D36
	v_mul_f32_e64 v55, v55, s6                                 // 000000007BEC: D1050037 00000D37
	v_mul_f32_e64 v56, v56, s6                                 // 000000007BF4: D1050038 00000D38
	v_mul_f32_e64 v57, v57, s6                                 // 000000007BFC: D1050039 00000D39
	v_exp_f32_e32 v54, v54                                     // 000000007C04: 7E6C4136
	v_exp_f32_e32 v55, v55                                     // 000000007C08: 7E6E4137
	v_exp_f32_e32 v56, v56                                     // 000000007C0C: 7E704138
	v_exp_f32_e32 v57, v57                                     // 000000007C10: 7E724139
	buffer_load_dwordx4 a[84:87], v23, s[12:15], 0 offen offset:1024// 000000007C14: E05C1400 80835417
	v_add_f32_e64 v54, v54, 1.0                                // 000000007C1C: D1010036 0001E536
	v_add_f32_e64 v55, v55, 1.0                                // 000000007C24: D1010037 0001E537
	v_add_f32_e64 v56, v56, 1.0                                // 000000007C2C: D1010038 0001E538
	v_add_f32_e64 v57, v57, 1.0                                // 000000007C34: D1010039 0001E539
	v_rcp_f32_e32 v54, v54                                     // 000000007C3C: 7E6C4536
	v_rcp_f32_e32 v55, v55                                     // 000000007C40: 7E6E4537
	v_rcp_f32_e32 v56, v56                                     // 000000007C44: 7E704538
	v_rcp_f32_e32 v57, v57                                     // 000000007C48: 7E724539
	v_mul_f32_e32 v168, v168, v54                              // 000000007C4C: 0B506DA8
	v_mul_f32_e32 v169, v169, v55                              // 000000007C50: 0B526FA9
	v_mul_f32_e32 v170, v170, v56                              // 000000007C54: 0B5471AA
	v_mul_f32_e32 v171, v171, v57                              // 000000007C58: 0B5673AB
	buffer_load_dwordx4 a[88:91], v23, s[12:15], 0 offen offset:2048// 000000007C5C: E05C1800 80835817
	v_mul_f32_e32 v54, v172, v172                              // 000000007C64: 0A6D59AC
	v_mul_f32_e32 v55, v173, v173                              // 000000007C68: 0A6F5BAD
	v_mul_f32_e32 v56, v174, v174                              // 000000007C6C: 0A715DAE
	v_mul_f32_e32 v57, v175, v175                              // 000000007C70: 0A735FAF
	v_fma_f32 v54, v54, s77, v5                                // 000000007C74: D1CB0036 04149B36
	v_fma_f32 v55, v55, s77, v5                                // 000000007C7C: D1CB0037 04149B37
	v_fma_f32 v56, v56, s77, v5                                // 000000007C84: D1CB0038 04149B38
	v_fma_f32 v57, v57, s77, v5                                // 000000007C8C: D1CB0039 04149B39
	v_mul_f32_e32 v54, v54, v172                               // 000000007C94: 0A6D5936
	v_mul_f32_e32 v55, v55, v173                               // 000000007C98: 0A6F5B37
	v_mul_f32_e32 v56, v56, v174                               // 000000007C9C: 0A715D38
	v_mul_f32_e32 v57, v57, v175                               // 000000007CA0: 0A735F39
	v_mul_f32_e64 v54, v54, s6                                 // 000000007CA4: D1050036 00000D36
	v_mul_f32_e64 v55, v55, s6                                 // 000000007CAC: D1050037 00000D37
	v_mul_f32_e64 v56, v56, s6                                 // 000000007CB4: D1050038 00000D38
	v_mul_f32_e64 v57, v57, s6                                 // 000000007CBC: D1050039 00000D39
	v_exp_f32_e32 v54, v54                                     // 000000007CC4: 7E6C4136
	v_exp_f32_e32 v55, v55                                     // 000000007CC8: 7E6E4137
	v_exp_f32_e32 v56, v56                                     // 000000007CCC: 7E704138
	v_exp_f32_e32 v57, v57                                     // 000000007CD0: 7E724139
	buffer_load_dwordx4 a[92:95], v23, s[12:15], 0 offen offset:3072// 000000007CD4: E05C1C00 80835C17
	v_add_f32_e64 v54, v54, 1.0                                // 000000007CDC: D1010036 0001E536
	v_add_f32_e64 v55, v55, 1.0                                // 000000007CE4: D1010037 0001E537
	v_add_f32_e64 v56, v56, 1.0                                // 000000007CEC: D1010038 0001E538
	v_add_f32_e64 v57, v57, 1.0                                // 000000007CF4: D1010039 0001E539
	v_rcp_f32_e32 v54, v54                                     // 000000007CFC: 7E6C4536
	v_rcp_f32_e32 v55, v55                                     // 000000007D00: 7E6E4537
	v_rcp_f32_e32 v56, v56                                     // 000000007D04: 7E704538
	v_rcp_f32_e32 v57, v57                                     // 000000007D08: 7E724539
	v_mul_f32_e32 v172, v172, v54                              // 000000007D0C: 0B586DAC
	v_mul_f32_e32 v173, v173, v55                              // 000000007D10: 0B5A6FAD
	v_mul_f32_e32 v174, v174, v56                              // 000000007D14: 0B5C71AE
	v_mul_f32_e32 v175, v175, v57                              // 000000007D18: 0B5E73AF
	s_waitcnt vmcnt(24)                                        // 000000007D1C: BF8C4F78
	buffer_load_dwordx4 a[96:99], v24, s[12:15], 0 offen       // 000000007D20: E05C1000 80836018
	v_mul_f32_e32 v54, v176, v176                              // 000000007D28: 0A6D61B0
	v_mul_f32_e32 v55, v177, v177                              // 000000007D2C: 0A6F63B1
	v_mul_f32_e32 v56, v178, v178                              // 000000007D30: 0A7165B2
	v_mul_f32_e32 v57, v179, v179                              // 000000007D34: 0A7367B3
	v_fma_f32 v54, v54, s77, v5                                // 000000007D38: D1CB0036 04149B36
	v_fma_f32 v55, v55, s77, v5                                // 000000007D40: D1CB0037 04149B37
	v_fma_f32 v56, v56, s77, v5                                // 000000007D48: D1CB0038 04149B38
	v_fma_f32 v57, v57, s77, v5                                // 000000007D50: D1CB0039 04149B39
	v_mul_f32_e32 v54, v54, v176                               // 000000007D58: 0A6D6136
	v_mul_f32_e32 v55, v55, v177                               // 000000007D5C: 0A6F6337
	v_mul_f32_e32 v56, v56, v178                               // 000000007D60: 0A716538
	v_mul_f32_e32 v57, v57, v179                               // 000000007D64: 0A736739
	v_mul_f32_e64 v54, v54, s6                                 // 000000007D68: D1050036 00000D36
	v_mul_f32_e64 v55, v55, s6                                 // 000000007D70: D1050037 00000D37
	v_mul_f32_e64 v56, v56, s6                                 // 000000007D78: D1050038 00000D38
	v_mul_f32_e64 v57, v57, s6                                 // 000000007D80: D1050039 00000D39
	v_exp_f32_e32 v54, v54                                     // 000000007D88: 7E6C4136
	v_exp_f32_e32 v55, v55                                     // 000000007D8C: 7E6E4137
	v_exp_f32_e32 v56, v56                                     // 000000007D90: 7E704138
	v_exp_f32_e32 v57, v57                                     // 000000007D94: 7E724139
	buffer_load_dwordx4 a[100:103], v24, s[12:15], 0 offen offset:1024// 000000007D98: E05C1400 80836418
	v_add_f32_e64 v54, v54, 1.0                                // 000000007DA0: D1010036 0001E536
	v_add_f32_e64 v55, v55, 1.0                                // 000000007DA8: D1010037 0001E537
	v_add_f32_e64 v56, v56, 1.0                                // 000000007DB0: D1010038 0001E538
	v_add_f32_e64 v57, v57, 1.0                                // 000000007DB8: D1010039 0001E539
	v_rcp_f32_e32 v54, v54                                     // 000000007DC0: 7E6C4536
	v_rcp_f32_e32 v55, v55                                     // 000000007DC4: 7E6E4537
	v_rcp_f32_e32 v56, v56                                     // 000000007DC8: 7E704538
	v_rcp_f32_e32 v57, v57                                     // 000000007DCC: 7E724539
	v_mul_f32_e32 v176, v176, v54                              // 000000007DD0: 0B606DB0
	v_mul_f32_e32 v177, v177, v55                              // 000000007DD4: 0B626FB1
	v_mul_f32_e32 v178, v178, v56                              // 000000007DD8: 0B6471B2
	v_mul_f32_e32 v179, v179, v57                              // 000000007DDC: 0B6673B3
	buffer_load_dwordx4 a[104:107], v24, s[12:15], 0 offen offset:2048// 000000007DE0: E05C1800 80836818
	v_mul_f32_e32 v54, v180, v180                              // 000000007DE8: 0A6D69B4
	v_mul_f32_e32 v55, v181, v181                              // 000000007DEC: 0A6F6BB5
	v_mul_f32_e32 v56, v182, v182                              // 000000007DF0: 0A716DB6
	v_mul_f32_e32 v57, v183, v183                              // 000000007DF4: 0A736FB7
	v_fma_f32 v54, v54, s77, v5                                // 000000007DF8: D1CB0036 04149B36
	v_fma_f32 v55, v55, s77, v5                                // 000000007E00: D1CB0037 04149B37
	v_fma_f32 v56, v56, s77, v5                                // 000000007E08: D1CB0038 04149B38
	v_fma_f32 v57, v57, s77, v5                                // 000000007E10: D1CB0039 04149B39
	v_mul_f32_e32 v54, v54, v180                               // 000000007E18: 0A6D6936
	v_mul_f32_e32 v55, v55, v181                               // 000000007E1C: 0A6F6B37
	v_mul_f32_e32 v56, v56, v182                               // 000000007E20: 0A716D38
	v_mul_f32_e32 v57, v57, v183                               // 000000007E24: 0A736F39
	v_mul_f32_e64 v54, v54, s6                                 // 000000007E28: D1050036 00000D36
	v_mul_f32_e64 v55, v55, s6                                 // 000000007E30: D1050037 00000D37
	v_mul_f32_e64 v56, v56, s6                                 // 000000007E38: D1050038 00000D38
	v_mul_f32_e64 v57, v57, s6                                 // 000000007E40: D1050039 00000D39
	v_exp_f32_e32 v54, v54                                     // 000000007E48: 7E6C4136
	v_exp_f32_e32 v55, v55                                     // 000000007E4C: 7E6E4137
	v_exp_f32_e32 v56, v56                                     // 000000007E50: 7E704138
	v_exp_f32_e32 v57, v57                                     // 000000007E54: 7E724139
	buffer_load_dwordx4 a[108:111], v24, s[12:15], 0 offen offset:3072// 000000007E58: E05C1C00 80836C18
	v_add_f32_e64 v54, v54, 1.0                                // 000000007E60: D1010036 0001E536
	v_add_f32_e64 v55, v55, 1.0                                // 000000007E68: D1010037 0001E537
	v_add_f32_e64 v56, v56, 1.0                                // 000000007E70: D1010038 0001E538
	v_add_f32_e64 v57, v57, 1.0                                // 000000007E78: D1010039 0001E539
	v_rcp_f32_e32 v54, v54                                     // 000000007E80: 7E6C4536
	v_rcp_f32_e32 v55, v55                                     // 000000007E84: 7E6E4537
	v_rcp_f32_e32 v56, v56                                     // 000000007E88: 7E704538
	v_rcp_f32_e32 v57, v57                                     // 000000007E8C: 7E724539
	v_mul_f32_e32 v180, v180, v54                              // 000000007E90: 0B686DB4
	v_mul_f32_e32 v181, v181, v55                              // 000000007E94: 0B6A6FB5
	v_mul_f32_e32 v182, v182, v56                              // 000000007E98: 0B6C71B6
	v_mul_f32_e32 v183, v183, v57                              // 000000007E9C: 0B6E73B7
	buffer_load_dwordx4 a[112:115], v25, s[12:15], 0 offen     // 000000007EA0: E05C1000 80837019
	v_mul_f32_e32 v54, v184, v184                              // 000000007EA8: 0A6D71B8
	v_mul_f32_e32 v55, v185, v185                              // 000000007EAC: 0A6F73B9
	v_mul_f32_e32 v56, v186, v186                              // 000000007EB0: 0A7175BA
	v_mul_f32_e32 v57, v187, v187                              // 000000007EB4: 0A7377BB
	v_fma_f32 v54, v54, s77, v5                                // 000000007EB8: D1CB0036 04149B36
	v_fma_f32 v55, v55, s77, v5                                // 000000007EC0: D1CB0037 04149B37
	v_fma_f32 v56, v56, s77, v5                                // 000000007EC8: D1CB0038 04149B38
	v_fma_f32 v57, v57, s77, v5                                // 000000007ED0: D1CB0039 04149B39
	v_mul_f32_e32 v54, v54, v184                               // 000000007ED8: 0A6D7136
	v_mul_f32_e32 v55, v55, v185                               // 000000007EDC: 0A6F7337
	v_mul_f32_e32 v56, v56, v186                               // 000000007EE0: 0A717538
	v_mul_f32_e32 v57, v57, v187                               // 000000007EE4: 0A737739
	v_mul_f32_e64 v54, v54, s6                                 // 000000007EE8: D1050036 00000D36
	v_mul_f32_e64 v55, v55, s6                                 // 000000007EF0: D1050037 00000D37
	v_mul_f32_e64 v56, v56, s6                                 // 000000007EF8: D1050038 00000D38
	v_mul_f32_e64 v57, v57, s6                                 // 000000007F00: D1050039 00000D39
	v_exp_f32_e32 v54, v54                                     // 000000007F08: 7E6C4136
	v_exp_f32_e32 v55, v55                                     // 000000007F0C: 7E6E4137
	v_exp_f32_e32 v56, v56                                     // 000000007F10: 7E704138
	v_exp_f32_e32 v57, v57                                     // 000000007F14: 7E724139
	buffer_load_dwordx4 a[116:119], v25, s[12:15], 0 offen offset:1024// 000000007F18: E05C1400 80837419
	v_add_f32_e64 v54, v54, 1.0                                // 000000007F20: D1010036 0001E536
	v_add_f32_e64 v55, v55, 1.0                                // 000000007F28: D1010037 0001E537
	v_add_f32_e64 v56, v56, 1.0                                // 000000007F30: D1010038 0001E538
	v_add_f32_e64 v57, v57, 1.0                                // 000000007F38: D1010039 0001E539
	v_rcp_f32_e32 v54, v54                                     // 000000007F40: 7E6C4536
	v_rcp_f32_e32 v55, v55                                     // 000000007F44: 7E6E4537
	v_rcp_f32_e32 v56, v56                                     // 000000007F48: 7E704538
	v_rcp_f32_e32 v57, v57                                     // 000000007F4C: 7E724539
	v_mul_f32_e32 v184, v184, v54                              // 000000007F50: 0B706DB8
	v_mul_f32_e32 v185, v185, v55                              // 000000007F54: 0B726FB9
	v_mul_f32_e32 v186, v186, v56                              // 000000007F58: 0B7471BA
	v_mul_f32_e32 v187, v187, v57                              // 000000007F5C: 0B7673BB
	buffer_load_dwordx4 a[120:123], v25, s[12:15], 0 offen offset:2048// 000000007F60: E05C1800 80837819
	v_mul_f32_e32 v54, v188, v188                              // 000000007F68: 0A6D79BC
	v_mul_f32_e32 v55, v189, v189                              // 000000007F6C: 0A6F7BBD
	v_mul_f32_e32 v56, v190, v190                              // 000000007F70: 0A717DBE
	v_mul_f32_e32 v57, v191, v191                              // 000000007F74: 0A737FBF
	v_fma_f32 v54, v54, s77, v5                                // 000000007F78: D1CB0036 04149B36
	v_fma_f32 v55, v55, s77, v5                                // 000000007F80: D1CB0037 04149B37
	v_fma_f32 v56, v56, s77, v5                                // 000000007F88: D1CB0038 04149B38
	v_fma_f32 v57, v57, s77, v5                                // 000000007F90: D1CB0039 04149B39
	v_mul_f32_e32 v54, v54, v188                               // 000000007F98: 0A6D7936
	v_mul_f32_e32 v55, v55, v189                               // 000000007F9C: 0A6F7B37
	v_mul_f32_e32 v56, v56, v190                               // 000000007FA0: 0A717D38
	v_mul_f32_e32 v57, v57, v191                               // 000000007FA4: 0A737F39
	v_mul_f32_e64 v54, v54, s6                                 // 000000007FA8: D1050036 00000D36
	v_mul_f32_e64 v55, v55, s6                                 // 000000007FB0: D1050037 00000D37
	v_mul_f32_e64 v56, v56, s6                                 // 000000007FB8: D1050038 00000D38
	v_mul_f32_e64 v57, v57, s6                                 // 000000007FC0: D1050039 00000D39
	v_exp_f32_e32 v54, v54                                     // 000000007FC8: 7E6C4136
	v_exp_f32_e32 v55, v55                                     // 000000007FCC: 7E6E4137
	v_exp_f32_e32 v56, v56                                     // 000000007FD0: 7E704138
	v_exp_f32_e32 v57, v57                                     // 000000007FD4: 7E724139
	buffer_load_dwordx4 a[124:127], v25, s[12:15], 0 offen offset:3072// 000000007FD8: E05C1C00 80837C19
	v_add_f32_e64 v54, v54, 1.0                                // 000000007FE0: D1010036 0001E536
	v_add_f32_e64 v55, v55, 1.0                                // 000000007FE8: D1010037 0001E537
	v_add_f32_e64 v56, v56, 1.0                                // 000000007FF0: D1010038 0001E538
	v_add_f32_e64 v57, v57, 1.0                                // 000000007FF8: D1010039 0001E539
	v_rcp_f32_e32 v54, v54                                     // 000000008000: 7E6C4536
	v_rcp_f32_e32 v55, v55                                     // 000000008004: 7E6E4537
	v_rcp_f32_e32 v56, v56                                     // 000000008008: 7E704538
	v_rcp_f32_e32 v57, v57                                     // 00000000800C: 7E724539
	v_mul_f32_e32 v188, v188, v54                              // 000000008010: 0B786DBC
	v_mul_f32_e32 v189, v189, v55                              // 000000008014: 0B7A6FBD
	v_mul_f32_e32 v190, v190, v56                              // 000000008018: 0B7C71BE
	v_mul_f32_e32 v191, v191, v57                              // 00000000801C: 0B7E73BF
	v_cmp_u_f32_e64 s[34:35], v128, v128                       // 000000008020: D0480022 00030180
	v_add3_u32 v50, v128, v53, 1                               // 000000008028: D1FF0032 02066B80
	v_cndmask_b32_e64 v54, v50, v52, s[34:35]                  // 000000008030: D1000036 008A6932
	v_cmp_u_f32_e64 s[34:35], v129, v129                       // 000000008038: D0480022 00030381
	v_add3_u32 v50, v129, v53, 1                               // 000000008040: D1FF0032 02066B81
	v_cndmask_b32_e64 v55, v50, v52, s[34:35]                  // 000000008048: D1000037 008A6932
	v_perm_b32 v128, v55, v54, s52                             // 000000008050: D1ED0080 00D26D37
	v_cmp_u_f32_e64 s[34:35], v130, v130                       // 000000008058: D0480022 00030582
	v_add3_u32 v50, v130, v53, 1                               // 000000008060: D1FF0032 02066B82
	v_cndmask_b32_e64 v54, v50, v52, s[34:35]                  // 000000008068: D1000036 008A6932
	v_cmp_u_f32_e64 s[34:35], v131, v131                       // 000000008070: D0480022 00030783
	v_add3_u32 v50, v131, v53, 1                               // 000000008078: D1FF0032 02066B83
	v_cndmask_b32_e64 v55, v50, v52, s[34:35]                  // 000000008080: D1000037 008A6932
	v_perm_b32 v129, v55, v54, s52                             // 000000008088: D1ED0081 00D26D37
	v_cmp_u_f32_e64 s[34:35], v132, v132                       // 000000008090: D0480022 00030984
	v_add3_u32 v50, v132, v53, 1                               // 000000008098: D1FF0032 02066B84
	v_cndmask_b32_e64 v54, v50, v52, s[34:35]                  // 0000000080A0: D1000036 008A6932
	v_cmp_u_f32_e64 s[34:35], v133, v133                       // 0000000080A8: D0480022 00030B85
	v_add3_u32 v50, v133, v53, 1                               // 0000000080B0: D1FF0032 02066B85
	v_cndmask_b32_e64 v55, v50, v52, s[34:35]                  // 0000000080B8: D1000037 008A6932
	v_perm_b32 v130, v55, v54, s52                             // 0000000080C0: D1ED0082 00D26D37
	v_cmp_u_f32_e64 s[34:35], v134, v134                       // 0000000080C8: D0480022 00030D86
	v_add3_u32 v50, v134, v53, 1                               // 0000000080D0: D1FF0032 02066B86
	v_cndmask_b32_e64 v54, v50, v52, s[34:35]                  // 0000000080D8: D1000036 008A6932
	v_cmp_u_f32_e64 s[34:35], v135, v135                       // 0000000080E0: D0480022 00030F87
	v_add3_u32 v50, v135, v53, 1                               // 0000000080E8: D1FF0032 02066B87
	v_cndmask_b32_e64 v55, v50, v52, s[34:35]                  // 0000000080F0: D1000037 008A6932
	v_perm_b32 v131, v55, v54, s52                             // 0000000080F8: D1ED0083 00D26D37
	v_cmp_u_f32_e64 s[34:35], v136, v136                       // 000000008100: D0480022 00031188
	v_add3_u32 v50, v136, v53, 1                               // 000000008108: D1FF0032 02066B88
	v_cndmask_b32_e64 v54, v50, v52, s[34:35]                  // 000000008110: D1000036 008A6932
	v_cmp_u_f32_e64 s[34:35], v137, v137                       // 000000008118: D0480022 00031389
	v_add3_u32 v50, v137, v53, 1                               // 000000008120: D1FF0032 02066B89
	v_cndmask_b32_e64 v55, v50, v52, s[34:35]                  // 000000008128: D1000037 008A6932
	v_perm_b32 v132, v55, v54, s52                             // 000000008130: D1ED0084 00D26D37
	v_cmp_u_f32_e64 s[34:35], v138, v138                       // 000000008138: D0480022 0003158A
	v_add3_u32 v50, v138, v53, 1                               // 000000008140: D1FF0032 02066B8A
	v_cndmask_b32_e64 v54, v50, v52, s[34:35]                  // 000000008148: D1000036 008A6932
	v_cmp_u_f32_e64 s[34:35], v139, v139                       // 000000008150: D0480022 0003178B
	v_add3_u32 v50, v139, v53, 1                               // 000000008158: D1FF0032 02066B8B
	v_cndmask_b32_e64 v55, v50, v52, s[34:35]                  // 000000008160: D1000037 008A6932
	v_perm_b32 v133, v55, v54, s52                             // 000000008168: D1ED0085 00D26D37
	v_cmp_u_f32_e64 s[34:35], v140, v140                       // 000000008170: D0480022 0003198C
	v_add3_u32 v50, v140, v53, 1                               // 000000008178: D1FF0032 02066B8C
	v_cndmask_b32_e64 v54, v50, v52, s[34:35]                  // 000000008180: D1000036 008A6932
	v_cmp_u_f32_e64 s[34:35], v141, v141                       // 000000008188: D0480022 00031B8D
	v_add3_u32 v50, v141, v53, 1                               // 000000008190: D1FF0032 02066B8D
	v_cndmask_b32_e64 v55, v50, v52, s[34:35]                  // 000000008198: D1000037 008A6932
	v_perm_b32 v134, v55, v54, s52                             // 0000000081A0: D1ED0086 00D26D37
	v_cmp_u_f32_e64 s[34:35], v142, v142                       // 0000000081A8: D0480022 00031D8E
	v_add3_u32 v50, v142, v53, 1                               // 0000000081B0: D1FF0032 02066B8E
	v_cndmask_b32_e64 v54, v50, v52, s[34:35]                  // 0000000081B8: D1000036 008A6932
	v_cmp_u_f32_e64 s[34:35], v143, v143                       // 0000000081C0: D0480022 00031F8F
	v_add3_u32 v50, v143, v53, 1                               // 0000000081C8: D1FF0032 02066B8F
	v_cndmask_b32_e64 v55, v50, v52, s[34:35]                  // 0000000081D0: D1000037 008A6932
	v_perm_b32 v135, v55, v54, s52                             // 0000000081D8: D1ED0087 00D26D37
	v_cmp_u_f32_e64 s[34:35], v144, v144                       // 0000000081E0: D0480022 00032190
	v_add3_u32 v50, v144, v53, 1                               // 0000000081E8: D1FF0032 02066B90
	v_cndmask_b32_e64 v54, v50, v52, s[34:35]                  // 0000000081F0: D1000036 008A6932
	v_cmp_u_f32_e64 s[34:35], v145, v145                       // 0000000081F8: D0480022 00032391
	v_add3_u32 v50, v145, v53, 1                               // 000000008200: D1FF0032 02066B91
	v_cndmask_b32_e64 v55, v50, v52, s[34:35]                  // 000000008208: D1000037 008A6932
	v_perm_b32 v136, v55, v54, s52                             // 000000008210: D1ED0088 00D26D37
	v_cmp_u_f32_e64 s[34:35], v146, v146                       // 000000008218: D0480022 00032592
	v_add3_u32 v50, v146, v53, 1                               // 000000008220: D1FF0032 02066B92
	v_cndmask_b32_e64 v54, v50, v52, s[34:35]                  // 000000008228: D1000036 008A6932
	v_cmp_u_f32_e64 s[34:35], v147, v147                       // 000000008230: D0480022 00032793
	v_add3_u32 v50, v147, v53, 1                               // 000000008238: D1FF0032 02066B93
	v_cndmask_b32_e64 v55, v50, v52, s[34:35]                  // 000000008240: D1000037 008A6932
	v_perm_b32 v137, v55, v54, s52                             // 000000008248: D1ED0089 00D26D37
	v_cmp_u_f32_e64 s[34:35], v148, v148                       // 000000008250: D0480022 00032994
	v_add3_u32 v50, v148, v53, 1                               // 000000008258: D1FF0032 02066B94
	v_cndmask_b32_e64 v54, v50, v52, s[34:35]                  // 000000008260: D1000036 008A6932
	v_cmp_u_f32_e64 s[34:35], v149, v149                       // 000000008268: D0480022 00032B95
	v_add3_u32 v50, v149, v53, 1                               // 000000008270: D1FF0032 02066B95
	v_cndmask_b32_e64 v55, v50, v52, s[34:35]                  // 000000008278: D1000037 008A6932
	v_perm_b32 v138, v55, v54, s52                             // 000000008280: D1ED008A 00D26D37
	v_cmp_u_f32_e64 s[34:35], v150, v150                       // 000000008288: D0480022 00032D96
	v_add3_u32 v50, v150, v53, 1                               // 000000008290: D1FF0032 02066B96
	v_cndmask_b32_e64 v54, v50, v52, s[34:35]                  // 000000008298: D1000036 008A6932
	v_cmp_u_f32_e64 s[34:35], v151, v151                       // 0000000082A0: D0480022 00032F97
	v_add3_u32 v50, v151, v53, 1                               // 0000000082A8: D1FF0032 02066B97
	v_cndmask_b32_e64 v55, v50, v52, s[34:35]                  // 0000000082B0: D1000037 008A6932
	v_perm_b32 v139, v55, v54, s52                             // 0000000082B8: D1ED008B 00D26D37
	v_cmp_u_f32_e64 s[34:35], v152, v152                       // 0000000082C0: D0480022 00033198
	v_add3_u32 v50, v152, v53, 1                               // 0000000082C8: D1FF0032 02066B98
	v_cndmask_b32_e64 v54, v50, v52, s[34:35]                  // 0000000082D0: D1000036 008A6932
	v_cmp_u_f32_e64 s[34:35], v153, v153                       // 0000000082D8: D0480022 00033399
	v_add3_u32 v50, v153, v53, 1                               // 0000000082E0: D1FF0032 02066B99
	v_cndmask_b32_e64 v55, v50, v52, s[34:35]                  // 0000000082E8: D1000037 008A6932
	v_perm_b32 v140, v55, v54, s52                             // 0000000082F0: D1ED008C 00D26D37
	v_cmp_u_f32_e64 s[34:35], v154, v154                       // 0000000082F8: D0480022 0003359A
	v_add3_u32 v50, v154, v53, 1                               // 000000008300: D1FF0032 02066B9A
	v_cndmask_b32_e64 v54, v50, v52, s[34:35]                  // 000000008308: D1000036 008A6932
	v_cmp_u_f32_e64 s[34:35], v155, v155                       // 000000008310: D0480022 0003379B
	v_add3_u32 v50, v155, v53, 1                               // 000000008318: D1FF0032 02066B9B
	v_cndmask_b32_e64 v55, v50, v52, s[34:35]                  // 000000008320: D1000037 008A6932
	v_perm_b32 v141, v55, v54, s52                             // 000000008328: D1ED008D 00D26D37
	v_cmp_u_f32_e64 s[34:35], v156, v156                       // 000000008330: D0480022 0003399C
	v_add3_u32 v50, v156, v53, 1                               // 000000008338: D1FF0032 02066B9C
	v_cndmask_b32_e64 v54, v50, v52, s[34:35]                  // 000000008340: D1000036 008A6932
	v_cmp_u_f32_e64 s[34:35], v157, v157                       // 000000008348: D0480022 00033B9D
	v_add3_u32 v50, v157, v53, 1                               // 000000008350: D1FF0032 02066B9D
	v_cndmask_b32_e64 v55, v50, v52, s[34:35]                  // 000000008358: D1000037 008A6932
	v_perm_b32 v142, v55, v54, s52                             // 000000008360: D1ED008E 00D26D37
	v_cmp_u_f32_e64 s[34:35], v158, v158                       // 000000008368: D0480022 00033D9E
	v_add3_u32 v50, v158, v53, 1                               // 000000008370: D1FF0032 02066B9E
	v_cndmask_b32_e64 v54, v50, v52, s[34:35]                  // 000000008378: D1000036 008A6932
	v_cmp_u_f32_e64 s[34:35], v159, v159                       // 000000008380: D0480022 00033F9F
	v_add3_u32 v50, v159, v53, 1                               // 000000008388: D1FF0032 02066B9F
	v_cndmask_b32_e64 v55, v50, v52, s[34:35]                  // 000000008390: D1000037 008A6932
	v_perm_b32 v143, v55, v54, s52                             // 000000008398: D1ED008F 00D26D37
	v_cmp_u_f32_e64 s[34:35], v160, v160                       // 0000000083A0: D0480022 000341A0
	v_add3_u32 v50, v160, v53, 1                               // 0000000083A8: D1FF0032 02066BA0
	v_cndmask_b32_e64 v54, v50, v52, s[34:35]                  // 0000000083B0: D1000036 008A6932
	v_cmp_u_f32_e64 s[34:35], v161, v161                       // 0000000083B8: D0480022 000343A1
	v_add3_u32 v50, v161, v53, 1                               // 0000000083C0: D1FF0032 02066BA1
	v_cndmask_b32_e64 v55, v50, v52, s[34:35]                  // 0000000083C8: D1000037 008A6932
	v_perm_b32 v144, v55, v54, s52                             // 0000000083D0: D1ED0090 00D26D37
	v_cmp_u_f32_e64 s[34:35], v162, v162                       // 0000000083D8: D0480022 000345A2
	v_add3_u32 v50, v162, v53, 1                               // 0000000083E0: D1FF0032 02066BA2
	v_cndmask_b32_e64 v54, v50, v52, s[34:35]                  // 0000000083E8: D1000036 008A6932
	v_cmp_u_f32_e64 s[34:35], v163, v163                       // 0000000083F0: D0480022 000347A3
	v_add3_u32 v50, v163, v53, 1                               // 0000000083F8: D1FF0032 02066BA3
	v_cndmask_b32_e64 v55, v50, v52, s[34:35]                  // 000000008400: D1000037 008A6932
	v_perm_b32 v145, v55, v54, s52                             // 000000008408: D1ED0091 00D26D37
	v_cmp_u_f32_e64 s[34:35], v164, v164                       // 000000008410: D0480022 000349A4
	v_add3_u32 v50, v164, v53, 1                               // 000000008418: D1FF0032 02066BA4
	v_cndmask_b32_e64 v54, v50, v52, s[34:35]                  // 000000008420: D1000036 008A6932
	v_cmp_u_f32_e64 s[34:35], v165, v165                       // 000000008428: D0480022 00034BA5
	v_add3_u32 v50, v165, v53, 1                               // 000000008430: D1FF0032 02066BA5
	v_cndmask_b32_e64 v55, v50, v52, s[34:35]                  // 000000008438: D1000037 008A6932
	v_perm_b32 v146, v55, v54, s52                             // 000000008440: D1ED0092 00D26D37
	v_cmp_u_f32_e64 s[34:35], v166, v166                       // 000000008448: D0480022 00034DA6
	v_add3_u32 v50, v166, v53, 1                               // 000000008450: D1FF0032 02066BA6
	v_cndmask_b32_e64 v54, v50, v52, s[34:35]                  // 000000008458: D1000036 008A6932
	v_cmp_u_f32_e64 s[34:35], v167, v167                       // 000000008460: D0480022 00034FA7
	v_add3_u32 v50, v167, v53, 1                               // 000000008468: D1FF0032 02066BA7
	v_cndmask_b32_e64 v55, v50, v52, s[34:35]                  // 000000008470: D1000037 008A6932
	v_perm_b32 v147, v55, v54, s52                             // 000000008478: D1ED0093 00D26D37
	v_cmp_u_f32_e64 s[34:35], v168, v168                       // 000000008480: D0480022 000351A8
	v_add3_u32 v50, v168, v53, 1                               // 000000008488: D1FF0032 02066BA8
	v_cndmask_b32_e64 v54, v50, v52, s[34:35]                  // 000000008490: D1000036 008A6932
	v_cmp_u_f32_e64 s[34:35], v169, v169                       // 000000008498: D0480022 000353A9
	v_add3_u32 v50, v169, v53, 1                               // 0000000084A0: D1FF0032 02066BA9
	v_cndmask_b32_e64 v55, v50, v52, s[34:35]                  // 0000000084A8: D1000037 008A6932
	v_perm_b32 v148, v55, v54, s52                             // 0000000084B0: D1ED0094 00D26D37
	v_cmp_u_f32_e64 s[34:35], v170, v170                       // 0000000084B8: D0480022 000355AA
	v_add3_u32 v50, v170, v53, 1                               // 0000000084C0: D1FF0032 02066BAA
	v_cndmask_b32_e64 v54, v50, v52, s[34:35]                  // 0000000084C8: D1000036 008A6932
	v_cmp_u_f32_e64 s[34:35], v171, v171                       // 0000000084D0: D0480022 000357AB
	v_add3_u32 v50, v171, v53, 1                               // 0000000084D8: D1FF0032 02066BAB
	v_cndmask_b32_e64 v55, v50, v52, s[34:35]                  // 0000000084E0: D1000037 008A6932
	v_perm_b32 v149, v55, v54, s52                             // 0000000084E8: D1ED0095 00D26D37
	v_cmp_u_f32_e64 s[34:35], v172, v172                       // 0000000084F0: D0480022 000359AC
	v_add3_u32 v50, v172, v53, 1                               // 0000000084F8: D1FF0032 02066BAC
	v_cndmask_b32_e64 v54, v50, v52, s[34:35]                  // 000000008500: D1000036 008A6932
	v_cmp_u_f32_e64 s[34:35], v173, v173                       // 000000008508: D0480022 00035BAD
	v_add3_u32 v50, v173, v53, 1                               // 000000008510: D1FF0032 02066BAD
	v_cndmask_b32_e64 v55, v50, v52, s[34:35]                  // 000000008518: D1000037 008A6932
	v_perm_b32 v150, v55, v54, s52                             // 000000008520: D1ED0096 00D26D37
	v_cmp_u_f32_e64 s[34:35], v174, v174                       // 000000008528: D0480022 00035DAE
	v_add3_u32 v50, v174, v53, 1                               // 000000008530: D1FF0032 02066BAE
	v_cndmask_b32_e64 v54, v50, v52, s[34:35]                  // 000000008538: D1000036 008A6932
	v_cmp_u_f32_e64 s[34:35], v175, v175                       // 000000008540: D0480022 00035FAF
	v_add3_u32 v50, v175, v53, 1                               // 000000008548: D1FF0032 02066BAF
	v_cndmask_b32_e64 v55, v50, v52, s[34:35]                  // 000000008550: D1000037 008A6932
	v_perm_b32 v151, v55, v54, s52                             // 000000008558: D1ED0097 00D26D37
	v_cmp_u_f32_e64 s[34:35], v176, v176                       // 000000008560: D0480022 000361B0
	v_add3_u32 v50, v176, v53, 1                               // 000000008568: D1FF0032 02066BB0
	v_cndmask_b32_e64 v54, v50, v52, s[34:35]                  // 000000008570: D1000036 008A6932
	v_cmp_u_f32_e64 s[34:35], v177, v177                       // 000000008578: D0480022 000363B1
	v_add3_u32 v50, v177, v53, 1                               // 000000008580: D1FF0032 02066BB1
	v_cndmask_b32_e64 v55, v50, v52, s[34:35]                  // 000000008588: D1000037 008A6932
	v_perm_b32 v152, v55, v54, s52                             // 000000008590: D1ED0098 00D26D37
	v_cmp_u_f32_e64 s[34:35], v178, v178                       // 000000008598: D0480022 000365B2
	v_add3_u32 v50, v178, v53, 1                               // 0000000085A0: D1FF0032 02066BB2
	v_cndmask_b32_e64 v54, v50, v52, s[34:35]                  // 0000000085A8: D1000036 008A6932
	v_cmp_u_f32_e64 s[34:35], v179, v179                       // 0000000085B0: D0480022 000367B3
	v_add3_u32 v50, v179, v53, 1                               // 0000000085B8: D1FF0032 02066BB3
	v_cndmask_b32_e64 v55, v50, v52, s[34:35]                  // 0000000085C0: D1000037 008A6932
	v_perm_b32 v153, v55, v54, s52                             // 0000000085C8: D1ED0099 00D26D37
	v_cmp_u_f32_e64 s[34:35], v180, v180                       // 0000000085D0: D0480022 000369B4
	v_add3_u32 v50, v180, v53, 1                               // 0000000085D8: D1FF0032 02066BB4
	v_cndmask_b32_e64 v54, v50, v52, s[34:35]                  // 0000000085E0: D1000036 008A6932
	v_cmp_u_f32_e64 s[34:35], v181, v181                       // 0000000085E8: D0480022 00036BB5
	v_add3_u32 v50, v181, v53, 1                               // 0000000085F0: D1FF0032 02066BB5
	v_cndmask_b32_e64 v55, v50, v52, s[34:35]                  // 0000000085F8: D1000037 008A6932
	v_perm_b32 v154, v55, v54, s52                             // 000000008600: D1ED009A 00D26D37
	v_cmp_u_f32_e64 s[34:35], v182, v182                       // 000000008608: D0480022 00036DB6
	v_add3_u32 v50, v182, v53, 1                               // 000000008610: D1FF0032 02066BB6
	v_cndmask_b32_e64 v54, v50, v52, s[34:35]                  // 000000008618: D1000036 008A6932
	v_cmp_u_f32_e64 s[34:35], v183, v183                       // 000000008620: D0480022 00036FB7
	v_add3_u32 v50, v183, v53, 1                               // 000000008628: D1FF0032 02066BB7
	v_cndmask_b32_e64 v55, v50, v52, s[34:35]                  // 000000008630: D1000037 008A6932
	v_perm_b32 v155, v55, v54, s52                             // 000000008638: D1ED009B 00D26D37
	v_cmp_u_f32_e64 s[34:35], v184, v184                       // 000000008640: D0480022 000371B8
	v_add3_u32 v50, v184, v53, 1                               // 000000008648: D1FF0032 02066BB8
	v_cndmask_b32_e64 v54, v50, v52, s[34:35]                  // 000000008650: D1000036 008A6932
	v_cmp_u_f32_e64 s[34:35], v185, v185                       // 000000008658: D0480022 000373B9
	v_add3_u32 v50, v185, v53, 1                               // 000000008660: D1FF0032 02066BB9
	v_cndmask_b32_e64 v55, v50, v52, s[34:35]                  // 000000008668: D1000037 008A6932
	v_perm_b32 v156, v55, v54, s52                             // 000000008670: D1ED009C 00D26D37
	v_cmp_u_f32_e64 s[34:35], v186, v186                       // 000000008678: D0480022 000375BA
	v_add3_u32 v50, v186, v53, 1                               // 000000008680: D1FF0032 02066BBA
	v_cndmask_b32_e64 v54, v50, v52, s[34:35]                  // 000000008688: D1000036 008A6932
	v_cmp_u_f32_e64 s[34:35], v187, v187                       // 000000008690: D0480022 000377BB
	v_add3_u32 v50, v187, v53, 1                               // 000000008698: D1FF0032 02066BBB
	v_cndmask_b32_e64 v55, v50, v52, s[34:35]                  // 0000000086A0: D1000037 008A6932
	v_perm_b32 v157, v55, v54, s52                             // 0000000086A8: D1ED009D 00D26D37
	v_cmp_u_f32_e64 s[34:35], v188, v188                       // 0000000086B0: D0480022 000379BC
	v_add3_u32 v50, v188, v53, 1                               // 0000000086B8: D1FF0032 02066BBC
	v_cndmask_b32_e64 v54, v50, v52, s[34:35]                  // 0000000086C0: D1000036 008A6932
	v_cmp_u_f32_e64 s[34:35], v189, v189                       // 0000000086C8: D0480022 00037BBD
	v_add3_u32 v50, v189, v53, 1                               // 0000000086D0: D1FF0032 02066BBD
	v_cndmask_b32_e64 v55, v50, v52, s[34:35]                  // 0000000086D8: D1000037 008A6932
	v_perm_b32 v158, v55, v54, s52                             // 0000000086E0: D1ED009E 00D26D37
	v_cmp_u_f32_e64 s[34:35], v190, v190                       // 0000000086E8: D0480022 00037DBE
	v_add3_u32 v50, v190, v53, 1                               // 0000000086F0: D1FF0032 02066BBE
	v_cndmask_b32_e64 v54, v50, v52, s[34:35]                  // 0000000086F8: D1000036 008A6932
	v_cmp_u_f32_e64 s[34:35], v191, v191                       // 000000008700: D0480022 00037FBF
	v_add3_u32 v50, v191, v53, 1                               // 000000008708: D1FF0032 02066BBF
	v_cndmask_b32_e64 v55, v50, v52, s[34:35]                  // 000000008710: D1000037 008A6932
	v_perm_b32 v159, v55, v54, s52                             // 000000008718: D1ED009F 00D26D37
	v_lshlrev_b32_e32 v54, 3, v0                               // 000000008720: 246C0083
	s_mul_i32 s60, 0x200, s7                                   // 000000008724: 923C07FF 00000200
	v_add_u32_e64 v54, v54, s60                                // 00000000872C: D1340036 00007936
	ds_write_b64 v54, v[128:129] offset:16640                  // 000000008734: D89A4100 00008036
	ds_write_b64 v54, v[130:131] offset:33024                  // 00000000873C: D89A8100 00008236
	ds_write_b64 v54, v[132:133] offset:18688                  // 000000008744: D89A4900 00008436
	ds_write_b64 v54, v[134:135] offset:35072                  // 00000000874C: D89A8900 00008636
	ds_write_b64 v54, v[136:137] offset:20736                  // 000000008754: D89A5100 00008836
	ds_write_b64 v54, v[138:139] offset:37120                  // 00000000875C: D89A9100 00008A36
	ds_write_b64 v54, v[140:141] offset:22784                  // 000000008764: D89A5900 00008C36
	ds_write_b64 v54, v[142:143] offset:39168                  // 00000000876C: D89A9900 00008E36
	ds_write_b64 v54, v[144:145] offset:24832                  // 000000008774: D89A6100 00009036
	ds_write_b64 v54, v[146:147] offset:41216                  // 00000000877C: D89AA100 00009236
	ds_write_b64 v54, v[148:149] offset:26880                  // 000000008784: D89A6900 00009436
	ds_write_b64 v54, v[150:151] offset:43264                  // 00000000878C: D89AA900 00009636
	ds_write_b64 v54, v[152:153] offset:28928                  // 000000008794: D89A7100 00009836
	ds_write_b64 v54, v[154:155] offset:45312                  // 00000000879C: D89AB100 00009A36
	ds_write_b64 v54, v[156:157] offset:30976                  // 0000000087A4: D89A7900 00009C36
	ds_write_b64 v54, v[158:159] offset:47360                  // 0000000087AC: D89AB900 00009E36
	s_waitcnt lgkmcnt(0)                                       // 0000000087B4: BF8CC07F
	s_barrier                                                  // 0000000087B8: BF8A0000
	v_lshrrev_b32_e32 v54, 4, v0                               // 0000000087BC: 206C0084
	v_lshlrev_b32_e32 v55, 6, v54                              // 0000000087C0: 246E6C86
	v_and_b32_e32 v54, 15, v0                                  // 0000000087C4: 266C008F
	v_lshlrev_b32_e32 v54, 1, v54                              // 0000000087C8: 246C6C81
	v_add_u32_e32 v55, v54, v55                                // 0000000087CC: 686E6F36
	v_lshlrev_b32_e32 v54, 2, v55                              // 0000000087D0: 246C6E82
	ds_read_b64 v[128:129], v54 offset:16640                   // 0000000087D4: D8EC4100 80000036
	ds_read_b64 v[130:131], v54 offset:16768                   // 0000000087DC: D8EC4180 82000036
	ds_read_b64 v[132:133], v54 offset:17664                   // 0000000087E4: D8EC4500 84000036
	ds_read_b64 v[134:135], v54 offset:17792                   // 0000000087EC: D8EC4580 86000036
	ds_read_b64 v[136:137], v54 offset:18688                   // 0000000087F4: D8EC4900 88000036
	ds_read_b64 v[138:139], v54 offset:18816                   // 0000000087FC: D8EC4980 8A000036
	ds_read_b64 v[140:141], v54 offset:19712                   // 000000008804: D8EC4D00 8C000036
	ds_read_b64 v[142:143], v54 offset:19840                   // 00000000880C: D8EC4D80 8E000036
	ds_read_b64 v[144:145], v54 offset:20736                   // 000000008814: D8EC5100 90000036
	ds_read_b64 v[146:147], v54 offset:20864                   // 00000000881C: D8EC5180 92000036
	ds_read_b64 v[148:149], v54 offset:21760                   // 000000008824: D8EC5500 94000036
	ds_read_b64 v[150:151], v54 offset:21888                   // 00000000882C: D8EC5580 96000036
	ds_read_b64 v[152:153], v54 offset:22784                   // 000000008834: D8EC5900 98000036
	ds_read_b64 v[154:155], v54 offset:22912                   // 00000000883C: D8EC5980 9A000036
	ds_read_b64 v[156:157], v54 offset:23808                   // 000000008844: D8EC5D00 9C000036
	ds_read_b64 v[158:159], v54 offset:23936                   // 00000000884C: D8EC5D80 9E000036
	ds_read_b64 v[160:161], v54 offset:24832                   // 000000008854: D8EC6100 A0000036
	ds_read_b64 v[162:163], v54 offset:24960                   // 00000000885C: D8EC6180 A2000036
	ds_read_b64 v[164:165], v54 offset:25856                   // 000000008864: D8EC6500 A4000036
	ds_read_b64 v[166:167], v54 offset:25984                   // 00000000886C: D8EC6580 A6000036
	ds_read_b64 v[168:169], v54 offset:26880                   // 000000008874: D8EC6900 A8000036
	ds_read_b64 v[170:171], v54 offset:27008                   // 00000000887C: D8EC6980 AA000036
	ds_read_b64 v[172:173], v54 offset:27904                   // 000000008884: D8EC6D00 AC000036
	ds_read_b64 v[174:175], v54 offset:28032                   // 00000000888C: D8EC6D80 AE000036
	ds_read_b64 v[176:177], v54 offset:28928                   // 000000008894: D8EC7100 B0000036
	ds_read_b64 v[178:179], v54 offset:29056                   // 00000000889C: D8EC7180 B2000036
	ds_read_b64 v[180:181], v54 offset:29952                   // 0000000088A4: D8EC7500 B4000036
	ds_read_b64 v[182:183], v54 offset:30080                   // 0000000088AC: D8EC7580 B6000036
	ds_read_b64 v[184:185], v54 offset:30976                   // 0000000088B4: D8EC7900 B8000036
	ds_read_b64 v[186:187], v54 offset:31104                   // 0000000088BC: D8EC7980 BA000036
	ds_read_b64 v[188:189], v54 offset:32000                   // 0000000088C4: D8EC7D00 BC000036
	ds_read_b64 v[190:191], v54 offset:32128                   // 0000000088CC: D8EC7D80 BE000036
	ds_read_b64 v[192:193], v54 offset:33024                   // 0000000088D4: D8EC8100 C0000036
	ds_read_b64 v[194:195], v54 offset:33152                   // 0000000088DC: D8EC8180 C2000036
	ds_read_b64 v[196:197], v54 offset:34048                   // 0000000088E4: D8EC8500 C4000036
	ds_read_b64 v[198:199], v54 offset:34176                   // 0000000088EC: D8EC8580 C6000036
	ds_read_b64 v[200:201], v54 offset:35072                   // 0000000088F4: D8EC8900 C8000036
	ds_read_b64 v[202:203], v54 offset:35200                   // 0000000088FC: D8EC8980 CA000036
	ds_read_b64 v[204:205], v54 offset:36096                   // 000000008904: D8EC8D00 CC000036
	ds_read_b64 v[206:207], v54 offset:36224                   // 00000000890C: D8EC8D80 CE000036
	ds_read_b64 v[208:209], v54 offset:37120                   // 000000008914: D8EC9100 D0000036
	ds_read_b64 v[210:211], v54 offset:37248                   // 00000000891C: D8EC9180 D2000036
	ds_read_b64 v[212:213], v54 offset:38144                   // 000000008924: D8EC9500 D4000036
	ds_read_b64 v[214:215], v54 offset:38272                   // 00000000892C: D8EC9580 D6000036
	ds_read_b64 v[216:217], v54 offset:39168                   // 000000008934: D8EC9900 D8000036
	ds_read_b64 v[218:219], v54 offset:39296                   // 00000000893C: D8EC9980 DA000036
	ds_read_b64 v[220:221], v54 offset:40192                   // 000000008944: D8EC9D00 DC000036
	ds_read_b64 v[222:223], v54 offset:40320                   // 00000000894C: D8EC9D80 DE000036
	ds_read_b64 v[224:225], v54 offset:41216                   // 000000008954: D8ECA100 E0000036
	ds_read_b64 v[226:227], v54 offset:41344                   // 00000000895C: D8ECA180 E2000036
	ds_read_b64 v[228:229], v54 offset:42240                   // 000000008964: D8ECA500 E4000036
	ds_read_b64 v[230:231], v54 offset:42368                   // 00000000896C: D8ECA580 E6000036
	ds_read_b64 v[232:233], v54 offset:43264                   // 000000008974: D8ECA900 E8000036
	ds_read_b64 v[234:235], v54 offset:43392                   // 00000000897C: D8ECA980 EA000036
	ds_read_b64 v[236:237], v54 offset:44288                   // 000000008984: D8ECAD00 EC000036
	ds_read_b64 v[238:239], v54 offset:44416                   // 00000000898C: D8ECAD80 EE000036
	ds_read_b64 v[240:241], v54 offset:45312                   // 000000008994: D8ECB100 F0000036
	ds_read_b64 v[242:243], v54 offset:45440                   // 00000000899C: D8ECB180 F2000036
	ds_read_b64 v[244:245], v54 offset:46336                   // 0000000089A4: D8ECB500 F4000036
	ds_read_b64 v[246:247], v54 offset:46464                   // 0000000089AC: D8ECB580 F6000036
	ds_read_b64 v[248:249], v54 offset:47360                   // 0000000089B4: D8ECB900 F8000036
	ds_read_b64 v[250:251], v54 offset:47488                   // 0000000089BC: D8ECB980 FA000036
	ds_read_b64 v[252:253], v54 offset:48384                   // 0000000089C4: D8ECBD00 FC000036
	ds_read_b64 v[254:255], v54 offset:48512                   // 0000000089CC: D8ECBD80 FE000036
	s_add_u32 s12, s56, s12                                    // 0000000089D4: 800C0C38
	s_addc_u32 s13, 0, s13                                     // 0000000089D8: 820D0D80
	v_mov_b32_e32 v64, 0                                       // 0000000089DC: 7E800280
	v_mov_b32_e32 v80, 0                                       // 0000000089E0: 7EA00280
	v_mov_b32_e32 v65, 0                                       // 0000000089E4: 7E820280
	v_mov_b32_e32 v81, 0                                       // 0000000089E8: 7EA20280
	v_mov_b32_e32 v66, 0                                       // 0000000089EC: 7E840280
	v_mov_b32_e32 v82, 0                                       // 0000000089F0: 7EA40280
	v_mov_b32_e32 v67, 0                                       // 0000000089F4: 7E860280
	v_mov_b32_e32 v83, 0                                       // 0000000089F8: 7EA60280
	v_mov_b32_e32 v68, 0                                       // 0000000089FC: 7E880280
	v_mov_b32_e32 v84, 0                                       // 000000008A00: 7EA80280
	v_mov_b32_e32 v69, 0                                       // 000000008A04: 7E8A0280
	v_mov_b32_e32 v85, 0                                       // 000000008A08: 7EAA0280
	v_mov_b32_e32 v70, 0                                       // 000000008A0C: 7E8C0280
	v_mov_b32_e32 v86, 0                                       // 000000008A10: 7EAC0280
	v_mov_b32_e32 v71, 0                                       // 000000008A14: 7E8E0280
	v_mov_b32_e32 v87, 0                                       // 000000008A18: 7EAE0280
	ds_write_b64 v3, v[64:65] offset:16640                     // 000000008A1C: D89A4100 00004003
	ds_write_b64 v3, v[66:67] offset:20992                     // 000000008A24: D89A5200 00004203
	ds_write_b64 v3, v[68:69] offset:18816                     // 000000008A2C: D89A4980 00004403
	ds_write_b64 v3, v[70:71] offset:23168                     // 000000008A34: D89A5A80 00004603
	s_mov_b32 s80, 0                                           // 000000008A3C: BED00080
	s_waitcnt vmcnt(24)                                        // 000000008A40: BF8C4F78

0000000000008a44 <label_1711>:
	s_waitcnt vmcnt(30) lgkmcnt(0)                             // 000000008A44: BF8C407E
	s_barrier                                                  // 000000008A48: BF8A0000
	v_mfma_f32_16x16x16_bf16 v[64:67], a[0:1], v[128:129], 0   // 000000008A4C: D3E10040 0A030100
	buffer_load_dwordx4 a[128:131], v18, s[12:15], 0 offen     // 000000008A54: E05C1000 80838012
	v_mfma_f32_16x16x16_bf16 v[64:67], a[2:3], v[130:131], v[64:67]// 000000008A5C: D3E10040 0D030502
	ds_read_b32 v10, v4 offset:16640                           // 000000008A64: D86C4100 0A000004
	ds_read_b32 v11, v4 offset:16672                           // 000000008A6C: D86C4120 0B000004
	v_mfma_f32_16x16x16_bf16 v[64:67], a[4:5], v[132:133], v[64:67]// 000000008A74: D3E10040 0D030904
	v_mfma_f32_16x16x16_bf16 v[64:67], a[6:7], v[134:135], v[64:67]// 000000008A7C: D3E10040 0D030D06
	ds_read_b32 v12, v4 offset:16704                           // 000000008A84: D86C4140 0C000004
	ds_read_b32 v13, v4 offset:16736                           // 000000008A8C: D86C4160 0D000004
	v_mfma_f32_16x16x16_bf16 v[64:67], a[8:9], v[136:137], v[64:67]// 000000008A94: D3E10040 0D031108
	buffer_load_dwordx4 a[132:135], v18, s[12:15], 0 offen offset:1024// 000000008A9C: E05C1400 80838412
	v_mfma_f32_16x16x16_bf16 v[64:67], a[10:11], v[138:139], v[64:67]// 000000008AA4: D3E10040 0D03150A
	ds_read_b32 v14, v4 offset:20992                           // 000000008AAC: D86C5200 0E000004
	ds_read_b32 v15, v4 offset:21024                           // 000000008AB4: D86C5220 0F000004
	v_mfma_f32_16x16x16_bf16 v[64:67], a[12:13], v[140:141], v[64:67]// 000000008ABC: D3E10040 0D03190C
	v_mfma_f32_16x16x16_bf16 v[64:67], a[14:15], v[142:143], v[64:67]// 000000008AC4: D3E10040 0D031D0E
	ds_read_b32 v16, v4 offset:21056                           // 000000008ACC: D86C5240 10000004
	ds_read_b32 v17, v4 offset:21088                           // 000000008AD4: D86C5260 11000004
	v_mfma_f32_16x16x16_bf16 v[68:71], a[0:1], v[192:193], 0   // 000000008ADC: D3E10044 0A038100
	buffer_load_dwordx4 a[136:139], v18, s[12:15], 0 offen offset:2048// 000000008AE4: E05C1800 80838812
	v_mfma_f32_16x16x16_bf16 v[68:71], a[2:3], v[194:195], v[68:71]// 000000008AEC: D3E10044 0D138502
	v_mfma_f32_16x16x16_bf16 v[68:71], a[4:5], v[196:197], v[68:71]// 000000008AF4: D3E10044 0D138904
	v_mfma_f32_16x16x16_bf16 v[68:71], a[6:7], v[198:199], v[68:71]// 000000008AFC: D3E10044 0D138D06
	v_mfma_f32_16x16x16_bf16 v[68:71], a[8:9], v[200:201], v[68:71]// 000000008B04: D3E10044 0D139108
	buffer_load_dwordx4 a[140:143], v18, s[12:15], 0 offen offset:3072// 000000008B0C: E05C1C00 80838C12
	v_mfma_f32_16x16x16_bf16 v[68:71], a[10:11], v[202:203], v[68:71]// 000000008B14: D3E10044 0D13950A
	v_mfma_f32_16x16x16_bf16 v[68:71], a[12:13], v[204:205], v[68:71]// 000000008B1C: D3E10044 0D13990C
	s_waitcnt lgkmcnt(0)                                       // 000000008B24: BF8CC07F
	s_mov_b64 exec, s[16:17]                                   // 000000008B28: BEFE0110
	global_atomic_pk_add_f16 v34, v10, s[8:9]                  // 000000008B2C: DD388000 00080A22
	s_mov_b64 exec, s[38:39]                                   // 000000008B34: BEFE0126
	v_mfma_f32_16x16x16_bf16 v[68:71], a[14:15], v[206:207], v[68:71]// 000000008B38: D3E10044 0D139D0E
	v_mfma_f32_16x16x16_bf16 v[72:75], a[16:17], v[128:129], 0 // 000000008B40: D3E10048 0A030110
	buffer_load_dwordx4 a[144:147], v19, s[12:15], 0 offen     // 000000008B48: E05C1000 80839013
	v_mfma_f32_16x16x16_bf16 v[72:75], a[18:19], v[130:131], v[72:75]// 000000008B50: D3E10048 0D230512
	v_mfma_f32_16x16x16_bf16 v[72:75], a[20:21], v[132:133], v[72:75]// 000000008B58: D3E10048 0D230914
	v_mfma_f32_16x16x16_bf16 v[72:75], a[22:23], v[134:135], v[72:75]// 000000008B60: D3E10048 0D230D16
	v_mfma_f32_16x16x16_bf16 v[72:75], a[24:25], v[136:137], v[72:75]// 000000008B68: D3E10048 0D231118
	buffer_load_dwordx4 a[148:151], v19, s[12:15], 0 offen offset:1024// 000000008B70: E05C1400 80839413
	v_mfma_f32_16x16x16_bf16 v[72:75], a[26:27], v[138:139], v[72:75]// 000000008B78: D3E10048 0D23151A
	v_mfma_f32_16x16x16_bf16 v[72:75], a[28:29], v[140:141], v[72:75]// 000000008B80: D3E10048 0D23191C
	v_mfma_f32_16x16x16_bf16 v[72:75], a[30:31], v[142:143], v[72:75]// 000000008B88: D3E10048 0D231D1E
	v_mfma_f32_16x16x16_bf16 v[76:79], a[16:17], v[192:193], 0 // 000000008B90: D3E1004C 0A038110
	buffer_load_dwordx4 a[152:155], v19, s[12:15], 0 offen offset:2048// 000000008B98: E05C1800 80839813
	v_mfma_f32_16x16x16_bf16 v[76:79], a[18:19], v[194:195], v[76:79]// 000000008BA0: D3E1004C 0D338512
	v_mfma_f32_16x16x16_bf16 v[76:79], a[20:21], v[196:197], v[76:79]// 000000008BA8: D3E1004C 0D338914
	v_mfma_f32_16x16x16_bf16 v[76:79], a[22:23], v[198:199], v[76:79]// 000000008BB0: D3E1004C 0D338D16
	v_mfma_f32_16x16x16_bf16 v[76:79], a[24:25], v[200:201], v[76:79]// 000000008BB8: D3E1004C 0D339118
	buffer_load_dwordx4 a[156:159], v19, s[12:15], 0 offen offset:3072// 000000008BC0: E05C1C00 80839C13
	v_mfma_f32_16x16x16_bf16 v[76:79], a[26:27], v[202:203], v[76:79]// 000000008BC8: D3E1004C 0D33951A
	v_mfma_f32_16x16x16_bf16 v[76:79], a[28:29], v[204:205], v[76:79]// 000000008BD0: D3E1004C 0D33991C
	s_mov_b64 exec, s[18:19]                                   // 000000008BD8: BEFE0112
	global_atomic_pk_add_f16 v36, v11, s[8:9]                  // 000000008BDC: DD388000 00080B24
	s_mov_b64 exec, s[38:39]                                   // 000000008BE4: BEFE0126
	v_mfma_f32_16x16x16_bf16 v[76:79], a[30:31], v[206:207], v[76:79]// 000000008BE8: D3E1004C 0D339D1E
	s_waitcnt vmcnt(30)                                        // 000000008BF0: BF8C4F7E
	v_mfma_f32_16x16x16_bf16 v[64:67], a[32:33], v[144:145], v[64:67]// 000000008BF4: D3E10040 0D032120
	buffer_load_dwordx4 a[160:163], v20, s[12:15], 0 offen     // 000000008BFC: E05C1000 8083A014
	v_mfma_f32_16x16x16_bf16 v[64:67], a[34:35], v[146:147], v[64:67]// 000000008C04: D3E10040 0D032522
	ds_write_b64 v3, v[80:81] offset:25344                     // 000000008C0C: D89A6300 00005003
	v_mfma_f32_16x16x16_bf16 v[64:67], a[36:37], v[148:149], v[64:67]// 000000008C14: D3E10040 0D032924
	v_mfma_f32_16x16x16_bf16 v[64:67], a[38:39], v[150:151], v[64:67]// 000000008C1C: D3E10040 0D032D26
	ds_write_b64 v3, v[82:83] offset:29696                     // 000000008C24: D89A7400 00005203
	v_mfma_f32_16x16x16_bf16 v[64:67], a[40:41], v[152:153], v[64:67]// 000000008C2C: D3E10040 0D033128
	buffer_load_dwordx4 a[164:167], v20, s[12:15], 0 offen offset:1024// 000000008C34: E05C1400 8083A414
	v_mfma_f32_16x16x16_bf16 v[64:67], a[42:43], v[154:155], v[64:67]// 000000008C3C: D3E10040 0D03352A
	ds_write_b64 v3, v[84:85] offset:27520                     // 000000008C44: D89A6B80 00005403
	v_mfma_f32_16x16x16_bf16 v[64:67], a[44:45], v[156:157], v[64:67]// 000000008C4C: D3E10040 0D03392C
	v_mfma_f32_16x16x16_bf16 v[64:67], a[46:47], v[158:159], v[64:67]// 000000008C54: D3E10040 0D033D2E
	ds_write_b64 v3, v[86:87] offset:31872                     // 000000008C5C: D89A7C80 00005603
	v_mfma_f32_16x16x16_bf16 v[68:71], a[32:33], v[208:209], v[68:71]// 000000008C64: D3E10044 0D13A120
	buffer_load_dwordx4 a[168:171], v20, s[12:15], 0 offen offset:2048// 000000008C6C: E05C1800 8083A814
	v_mfma_f32_16x16x16_bf16 v[68:71], a[34:35], v[210:211], v[68:71]// 000000008C74: D3E10044 0D13A522
	v_mfma_f32_16x16x16_bf16 v[68:71], a[36:37], v[212:213], v[68:71]// 000000008C7C: D3E10044 0D13A924
	v_mfma_f32_16x16x16_bf16 v[68:71], a[38:39], v[214:215], v[68:71]// 000000008C84: D3E10044 0D13AD26
	v_mfma_f32_16x16x16_bf16 v[68:71], a[40:41], v[216:217], v[68:71]// 000000008C8C: D3E10044 0D13B128
	buffer_load_dwordx4 a[172:175], v20, s[12:15], 0 offen offset:3072// 000000008C94: E05C1C00 8083AC14
	v_mfma_f32_16x16x16_bf16 v[68:71], a[42:43], v[218:219], v[68:71]// 000000008C9C: D3E10044 0D13B52A
	v_mfma_f32_16x16x16_bf16 v[68:71], a[44:45], v[220:221], v[68:71]// 000000008CA4: D3E10044 0D13B92C
	s_mov_b64 exec, s[20:21]                                   // 000000008CAC: BEFE0114
	global_atomic_pk_add_f16 v38, v12, s[8:9]                  // 000000008CB0: DD388000 00080C26
	s_mov_b64 exec, s[38:39]                                   // 000000008CB8: BEFE0126
	v_mfma_f32_16x16x16_bf16 v[68:71], a[46:47], v[222:223], v[68:71]// 000000008CBC: D3E10044 0D13BD2E
	v_mfma_f32_16x16x16_bf16 v[72:75], a[48:49], v[144:145], v[72:75]// 000000008CC4: D3E10048 0D232130
	buffer_load_dwordx4 a[176:179], v21, s[12:15], 0 offen     // 000000008CCC: E05C1000 8083B015
	v_mfma_f32_16x16x16_bf16 v[72:75], a[50:51], v[146:147], v[72:75]// 000000008CD4: D3E10048 0D232532
	v_mfma_f32_16x16x16_bf16 v[72:75], a[52:53], v[148:149], v[72:75]// 000000008CDC: D3E10048 0D232934
	v_mfma_f32_16x16x16_bf16 v[72:75], a[54:55], v[150:151], v[72:75]// 000000008CE4: D3E10048 0D232D36
	v_mfma_f32_16x16x16_bf16 v[72:75], a[56:57], v[152:153], v[72:75]// 000000008CEC: D3E10048 0D233138
	buffer_load_dwordx4 a[180:183], v21, s[12:15], 0 offen offset:1024// 000000008CF4: E05C1400 8083B415
	v_mfma_f32_16x16x16_bf16 v[72:75], a[58:59], v[154:155], v[72:75]// 000000008CFC: D3E10048 0D23353A
	v_mfma_f32_16x16x16_bf16 v[72:75], a[60:61], v[156:157], v[72:75]// 000000008D04: D3E10048 0D23393C
	v_mfma_f32_16x16x16_bf16 v[72:75], a[62:63], v[158:159], v[72:75]// 000000008D0C: D3E10048 0D233D3E
	v_mfma_f32_16x16x16_bf16 v[76:79], a[48:49], v[208:209], v[76:79]// 000000008D14: D3E1004C 0D33A130
	buffer_load_dwordx4 a[184:187], v21, s[12:15], 0 offen offset:2048// 000000008D1C: E05C1800 8083B815
	v_mfma_f32_16x16x16_bf16 v[76:79], a[50:51], v[210:211], v[76:79]// 000000008D24: D3E1004C 0D33A532
	v_mfma_f32_16x16x16_bf16 v[76:79], a[52:53], v[212:213], v[76:79]// 000000008D2C: D3E1004C 0D33A934
	v_mfma_f32_16x16x16_bf16 v[76:79], a[54:55], v[214:215], v[76:79]// 000000008D34: D3E1004C 0D33AD36
	v_mfma_f32_16x16x16_bf16 v[76:79], a[56:57], v[216:217], v[76:79]// 000000008D3C: D3E1004C 0D33B138
	buffer_load_dwordx4 a[188:191], v21, s[12:15], 0 offen offset:3072// 000000008D44: E05C1C00 8083BC15
	v_mfma_f32_16x16x16_bf16 v[76:79], a[58:59], v[218:219], v[76:79]// 000000008D4C: D3E1004C 0D33B53A
	v_mfma_f32_16x16x16_bf16 v[76:79], a[60:61], v[220:221], v[76:79]// 000000008D54: D3E1004C 0D33B93C
	s_mov_b64 exec, s[22:23]                                   // 000000008D5C: BEFE0116
	global_atomic_pk_add_f16 v40, v13, s[8:9]                  // 000000008D60: DD388000 00080D28
	s_mov_b64 exec, s[38:39]                                   // 000000008D68: BEFE0126
	v_mfma_f32_16x16x16_bf16 v[76:79], a[62:63], v[222:223], v[76:79]// 000000008D6C: D3E1004C 0D33BD3E
	s_waitcnt vmcnt(30)                                        // 000000008D74: BF8C4F7E
	v_mfma_f32_16x16x16_bf16 v[64:67], a[64:65], v[160:161], v[64:67]// 000000008D78: D3E10040 0D034140
	buffer_load_dwordx4 a[192:195], v22, s[12:15], 0 offen     // 000000008D80: E05C1000 8083C016
	v_mfma_f32_16x16x16_bf16 v[64:67], a[66:67], v[162:163], v[64:67]// 000000008D88: D3E10040 0D034542
	v_mfma_f32_16x16x16_bf16 v[64:67], a[68:69], v[164:165], v[64:67]// 000000008D90: D3E10040 0D034944
	s_add_u32 s60, 0x100, s80                                  // 000000008D98: 803C50FF 00000100
	s_cmp_lt_u32 s60, s81                                      // 000000008DA0: BF0A513C
	s_cselect_b32 s56, s56, 0                                  // 000000008DA4: 85388038
	v_mfma_f32_16x16x16_bf16 v[64:67], a[70:71], v[166:167], v[64:67]// 000000008DA8: D3E10040 0D034D46
	v_mfma_f32_16x16x16_bf16 v[64:67], a[72:73], v[168:169], v[64:67]// 000000008DB0: D3E10040 0D035148
	buffer_load_dwordx4 a[196:199], v22, s[12:15], 0 offen offset:1024// 000000008DB8: E05C1400 8083C416
	v_mfma_f32_16x16x16_bf16 v[64:67], a[74:75], v[170:171], v[64:67]// 000000008DC0: D3E10040 0D03554A
	v_mfma_f32_16x16x16_bf16 v[64:67], a[76:77], v[172:173], v[64:67]// 000000008DC8: D3E10040 0D03594C
	s_cmp_ge_u32 s80, 0x100                                    // 000000008DD0: BF09FF50 00000100
	s_cselect_b32 s59, 0x100, s59                              // 000000008DD8: 853B3BFF 00000100
	v_mfma_f32_16x16x16_bf16 v[64:67], a[78:79], v[174:175], v[64:67]// 000000008DE0: D3E10040 0D035D4E
	v_mfma_f32_16x16x16_bf16 v[68:71], a[64:65], v[224:225], v[68:71]// 000000008DE8: D3E10044 0D13C140
	buffer_load_dwordx4 a[200:203], v22, s[12:15], 0 offen offset:2048// 000000008DF0: E05C1800 8083C816
	v_mfma_f32_16x16x16_bf16 v[68:71], a[66:67], v[226:227], v[68:71]// 000000008DF8: D3E10044 0D13C542
	v_mfma_f32_16x16x16_bf16 v[68:71], a[68:69], v[228:229], v[68:71]// 000000008E00: D3E10044 0D13C944
	s_add_u32 s16, s57, s16                                    // 000000008E08: 80101039
	s_addc_u32 s17, 0, s17                                     // 000000008E0C: 82111180
	v_mfma_f32_16x16x16_bf16 v[68:71], a[70:71], v[230:231], v[68:71]// 000000008E10: D3E10044 0D13CD46
	v_mfma_f32_16x16x16_bf16 v[68:71], a[72:73], v[232:233], v[68:71]// 000000008E18: D3E10044 0D13D148
	buffer_load_dwordx4 a[204:207], v22, s[12:15], 0 offen offset:3072// 000000008E20: E05C1C00 8083CC16
	v_mfma_f32_16x16x16_bf16 v[68:71], a[74:75], v[234:235], v[68:71]// 000000008E28: D3E10044 0D13D54A
	v_mfma_f32_16x16x16_bf16 v[68:71], a[76:77], v[236:237], v[68:71]// 000000008E30: D3E10044 0D13D94C
	s_mov_b64 exec, s[24:25]                                   // 000000008E38: BEFE0118
	global_atomic_pk_add_f16 v42, v14, s[8:9]                  // 000000008E3C: DD388000 00080E2A
	s_mov_b64 exec, s[38:39]                                   // 000000008E44: BEFE0126
	v_mfma_f32_16x16x16_bf16 v[68:71], a[78:79], v[238:239], v[68:71]// 000000008E48: D3E10044 0D13DD4E
	v_mfma_f32_16x16x16_bf16 v[72:75], a[80:81], v[160:161], v[72:75]// 000000008E50: D3E10048 0D234150
	buffer_load_dwordx4 a[208:211], v23, s[12:15], 0 offen     // 000000008E58: E05C1000 8083D017
	v_mfma_f32_16x16x16_bf16 v[72:75], a[82:83], v[162:163], v[72:75]// 000000008E60: D3E10048 0D234552
	v_mfma_f32_16x16x16_bf16 v[72:75], a[84:85], v[164:165], v[72:75]// 000000008E68: D3E10048 0D234954
	v_mfma_f32_16x16x16_bf16 v[72:75], a[86:87], v[166:167], v[72:75]// 000000008E70: D3E10048 0D234D56
	v_mfma_f32_16x16x16_bf16 v[72:75], a[88:89], v[168:169], v[72:75]// 000000008E78: D3E10048 0D235158
	buffer_load_dwordx4 a[212:215], v23, s[12:15], 0 offen offset:1024// 000000008E80: E05C1400 8083D417
	v_mfma_f32_16x16x16_bf16 v[72:75], a[90:91], v[170:171], v[72:75]// 000000008E88: D3E10048 0D23555A
	v_mfma_f32_16x16x16_bf16 v[72:75], a[92:93], v[172:173], v[72:75]// 000000008E90: D3E10048 0D23595C
	v_mfma_f32_16x16x16_bf16 v[72:75], a[94:95], v[174:175], v[72:75]// 000000008E98: D3E10048 0D235D5E
	v_mfma_f32_16x16x16_bf16 v[76:79], a[80:81], v[224:225], v[76:79]// 000000008EA0: D3E1004C 0D33C150
	buffer_load_dwordx4 a[216:219], v23, s[12:15], 0 offen offset:2048// 000000008EA8: E05C1800 8083D817
	v_mfma_f32_16x16x16_bf16 v[76:79], a[82:83], v[226:227], v[76:79]// 000000008EB0: D3E1004C 0D33C552
	v_mfma_f32_16x16x16_bf16 v[76:79], a[84:85], v[228:229], v[76:79]// 000000008EB8: D3E1004C 0D33C954
	v_mfma_f32_16x16x16_bf16 v[76:79], a[86:87], v[230:231], v[76:79]// 000000008EC0: D3E1004C 0D33CD56
	v_mfma_f32_16x16x16_bf16 v[76:79], a[88:89], v[232:233], v[76:79]// 000000008EC8: D3E1004C 0D33D158
	buffer_load_dwordx4 a[220:223], v23, s[12:15], 0 offen offset:3072// 000000008ED0: E05C1C00 8083DC17
	v_mfma_f32_16x16x16_bf16 v[76:79], a[90:91], v[234:235], v[76:79]// 000000008ED8: D3E1004C 0D33D55A
	v_mfma_f32_16x16x16_bf16 v[76:79], a[92:93], v[236:237], v[76:79]// 000000008EE0: D3E1004C 0D33D95C
	s_mov_b64 exec, s[26:27]                                   // 000000008EE8: BEFE011A
	global_atomic_pk_add_f16 v44, v15, s[8:9]                  // 000000008EEC: DD388000 00080F2C
	s_mov_b64 exec, s[38:39]                                   // 000000008EF4: BEFE0126
	v_mfma_f32_16x16x16_bf16 v[76:79], a[94:95], v[238:239], v[76:79]// 000000008EF8: D3E1004C 0D33DD5E
	s_waitcnt vmcnt(30)                                        // 000000008F00: BF8C4F7E
	v_mfma_f32_16x16x16_bf16 v[64:67], a[96:97], v[176:177], v[64:67]// 000000008F04: D3E10040 0D036160
	buffer_load_dwordx4 a[224:227], v24, s[12:15], 0 offen     // 000000008F0C: E05C1000 8083E018
	v_mfma_f32_16x16x16_bf16 v[64:67], a[98:99], v[178:179], v[64:67]// 000000008F14: D3E10040 0D036562
	v_mfma_f32_16x16x16_bf16 v[64:67], a[100:101], v[180:181], v[64:67]// 000000008F1C: D3E10040 0D036964
	v_mfma_f32_16x16x16_bf16 v[64:67], a[102:103], v[182:183], v[64:67]// 000000008F24: D3E10040 0D036D66
	v_mfma_f32_16x16x16_bf16 v[64:67], a[104:105], v[184:185], v[64:67]// 000000008F2C: D3E10040 0D037168
	buffer_load_dwordx4 a[228:231], v24, s[12:15], 0 offen offset:1024// 000000008F34: E05C1400 8083E418
	v_mfma_f32_16x16x16_bf16 v[64:67], a[106:107], v[186:187], v[64:67]// 000000008F3C: D3E10040 0D03756A
	v_mfma_f32_16x16x16_bf16 v[64:67], a[108:109], v[188:189], v[64:67]// 000000008F44: D3E10040 0D03796C
	v_mfma_f32_16x16x16_bf16 v[64:67], a[110:111], v[190:191], v[64:67]// 000000008F4C: D3E10040 0D037D6E
	v_mfma_f32_16x16x16_bf16 v[68:71], a[96:97], v[240:241], v[68:71]// 000000008F54: D3E10044 0D13E160
	buffer_load_dwordx4 a[232:235], v24, s[12:15], 0 offen offset:2048// 000000008F5C: E05C1800 8083E818
	v_mfma_f32_16x16x16_bf16 v[68:71], a[98:99], v[242:243], v[68:71]// 000000008F64: D3E10044 0D13E562
	v_mfma_f32_16x16x16_bf16 v[68:71], a[100:101], v[244:245], v[68:71]// 000000008F6C: D3E10044 0D13E964
	v_mfma_f32_16x16x16_bf16 v[68:71], a[102:103], v[246:247], v[68:71]// 000000008F74: D3E10044 0D13ED66
	v_mfma_f32_16x16x16_bf16 v[68:71], a[104:105], v[248:249], v[68:71]// 000000008F7C: D3E10044 0D13F168
	buffer_load_dwordx4 a[236:239], v24, s[12:15], 0 offen offset:3072// 000000008F84: E05C1C00 8083EC18
	v_mfma_f32_16x16x16_bf16 v[68:71], a[106:107], v[250:251], v[68:71]// 000000008F8C: D3E10044 0D13F56A
	v_mfma_f32_16x16x16_bf16 v[68:71], a[108:109], v[252:253], v[68:71]// 000000008F94: D3E10044 0D13F96C
	s_mov_b64 exec, s[28:29]                                   // 000000008F9C: BEFE011C
	global_atomic_pk_add_f16 v46, v16, s[8:9]                  // 000000008FA0: DD388000 0008102E
	s_mov_b64 exec, s[38:39]                                   // 000000008FA8: BEFE0126
	v_mfma_f32_16x16x16_bf16 v[68:71], a[110:111], v[254:255], v[68:71]// 000000008FAC: D3E10044 0D13FD6E
	v_mfma_f32_16x16x16_bf16 v[72:75], a[112:113], v[176:177], v[72:75]// 000000008FB4: D3E10048 0D236170
	buffer_load_dwordx4 a[240:243], v25, s[12:15], 0 offen     // 000000008FBC: E05C1000 8083F019
	v_mfma_f32_16x16x16_bf16 v[72:75], a[114:115], v[178:179], v[72:75]// 000000008FC4: D3E10048 0D236572
	v_mfma_f32_16x16x16_bf16 v[72:75], a[116:117], v[180:181], v[72:75]// 000000008FCC: D3E10048 0D236974
	v_mfma_f32_16x16x16_bf16 v[72:75], a[118:119], v[182:183], v[72:75]// 000000008FD4: D3E10048 0D236D76
	v_mfma_f32_16x16x16_bf16 v[72:75], a[120:121], v[184:185], v[72:75]// 000000008FDC: D3E10048 0D237178
	buffer_load_dwordx4 a[244:247], v25, s[12:15], 0 offen offset:1024// 000000008FE4: E05C1400 8083F419
	v_mfma_f32_16x16x16_bf16 v[72:75], a[122:123], v[186:187], v[72:75]// 000000008FEC: D3E10048 0D23757A
	v_mfma_f32_16x16x16_bf16 v[72:75], a[124:125], v[188:189], v[72:75]// 000000008FF4: D3E10048 0D23797C
	v_mfma_f32_16x16x16_bf16 v[72:75], a[126:127], v[190:191], v[72:75]// 000000008FFC: D3E10048 0D237D7E
	v_mfma_f32_16x16x16_bf16 v[76:79], a[112:113], v[240:241], v[76:79]// 000000009004: D3E1004C 0D33E170
	buffer_load_dwordx4 a[248:251], v25, s[12:15], 0 offen offset:2048// 00000000900C: E05C1800 8083F819
	v_mfma_f32_16x16x16_bf16 v[76:79], a[114:115], v[242:243], v[76:79]// 000000009014: D3E1004C 0D33E572
	v_mfma_f32_16x16x16_bf16 v[76:79], a[116:117], v[244:245], v[76:79]// 00000000901C: D3E1004C 0D33E974
	v_mfma_f32_16x16x16_bf16 v[76:79], a[118:119], v[246:247], v[76:79]// 000000009024: D3E1004C 0D33ED76
	v_mfma_f32_16x16x16_bf16 v[76:79], a[120:121], v[248:249], v[76:79]// 00000000902C: D3E1004C 0D33F178
	buffer_load_dwordx4 a[252:255], v25, s[12:15], 0 offen offset:3072// 000000009034: E05C1C00 8083FC19
	v_mfma_f32_16x16x16_bf16 v[76:79], a[122:123], v[250:251], v[76:79]// 00000000903C: D3E1004C 0D33F57A
	v_mfma_f32_16x16x16_bf16 v[76:79], a[124:125], v[252:253], v[76:79]// 000000009044: D3E1004C 0D33F97C
	s_mov_b64 exec, s[30:31]                                   // 00000000904C: BEFE011E
	global_atomic_pk_add_f16 v48, v17, s[8:9]                  // 000000009050: DD388000 00081130
	s_mov_b64 exec, s[38:39]                                   // 000000009058: BEFE0126
	s_add_u32 s12, s56, s12                                    // 00000000905C: 800C0C38
	s_addc_u32 s13, 0, s13                                     // 000000009060: 820D0D80
	v_mfma_f32_16x16x16_bf16 v[76:79], a[126:127], v[254:255], v[76:79]// 000000009064: D3E1004C 0D33FD7E
	s_add_u32 s8, s59, s8                                      // 00000000906C: 8008083B
	s_addc_u32 s9, 0, s9                                       // 000000009070: 82090980
	v_mul_f32_e32 v64, v8, v64                                 // 000000009074: 0A808108
	v_mul_f32_e32 v65, v8, v65                                 // 000000009078: 0A828308
	v_mul_f32_e32 v66, v8, v66                                 // 00000000907C: 0A848508
	v_mul_f32_e32 v67, v8, v67                                 // 000000009080: 0A868708
	v_mul_f32_e32 v68, v9, v68                                 // 000000009084: 0A888909
	v_mul_f32_e32 v69, v9, v69                                 // 000000009088: 0A8A8B09
	v_mul_f32_e32 v70, v9, v70                                 // 00000000908C: 0A8C8D09
	v_mul_f32_e32 v71, v9, v71                                 // 000000009090: 0A8E8F09
	v_mul_f32_e32 v72, v8, v72                                 // 000000009094: 0A909108
	v_mul_f32_e32 v73, v8, v73                                 // 000000009098: 0A929308
	v_mul_f32_e32 v74, v8, v74                                 // 00000000909C: 0A949508
	v_mul_f32_e32 v75, v8, v75                                 // 0000000090A0: 0A969708
	v_mul_f32_e32 v76, v9, v76                                 // 0000000090A4: 0A989909
	v_mul_f32_e32 v77, v9, v77                                 // 0000000090A8: 0A9A9B09
	v_mul_f32_e32 v78, v9, v78                                 // 0000000090AC: 0A9C9D09
	v_mul_f32_e32 v79, v9, v79                                 // 0000000090B0: 0A9E9F09
	v_cvt_pkrtz_f16_f32 v64, v64, v65                          // 0000000090B4: D2960040 00028340
	v_cvt_pkrtz_f16_f32 v65, v66, v67                          // 0000000090BC: D2960041 00028742
	v_cvt_pkrtz_f16_f32 v66, v68, v69                          // 0000000090C4: D2960042 00028B44
	v_cvt_pkrtz_f16_f32 v67, v70, v71                          // 0000000090CC: D2960043 00028F46
	v_cvt_pkrtz_f16_f32 v68, v72, v73                          // 0000000090D4: D2960044 00029348
	v_cvt_pkrtz_f16_f32 v69, v74, v75                          // 0000000090DC: D2960045 0002974A
	v_cvt_pkrtz_f16_f32 v70, v76, v77                          // 0000000090E4: D2960046 00029B4C
	v_cvt_pkrtz_f16_f32 v71, v78, v79                          // 0000000090EC: D2960047 00029F4E
	s_addk_i32 s80, 0x80                                       // 0000000090F4: B7500080
	s_cmp_lt_i32 s80, s81                                      // 0000000090F8: BF045150
	s_cbranch_scc0 label_0E67                                  // 0000000090FC: BF84F5A7
	s_waitcnt vmcnt(30) lgkmcnt(0)                             // 000000009100: BF8C407E
	s_barrier                                                  // 000000009104: BF8A0000
	v_mfma_f32_16x16x16_bf16 v[80:83], a[128:129], v[128:129], 0// 000000009108: D3E10050 0A030180
	buffer_load_dwordx4 a[0:3], v18, s[12:15], 0 offen         // 000000009110: E05C1000 80830012
	v_mfma_f32_16x16x16_bf16 v[80:83], a[130:131], v[130:131], v[80:83]// 000000009118: D3E10050 0D430582
	ds_read_b32 v10, v4 offset:25344                           // 000000009120: D86C6300 0A000004
	ds_read_b32 v11, v4 offset:25376                           // 000000009128: D86C6320 0B000004
	v_mfma_f32_16x16x16_bf16 v[80:83], a[132:133], v[132:133], v[80:83]// 000000009130: D3E10050 0D430984
	v_mfma_f32_16x16x16_bf16 v[80:83], a[134:135], v[134:135], v[80:83]// 000000009138: D3E10050 0D430D86
	ds_read_b32 v12, v4 offset:25408                           // 000000009140: D86C6340 0C000004
	ds_read_b32 v13, v4 offset:25440                           // 000000009148: D86C6360 0D000004
	v_mfma_f32_16x16x16_bf16 v[80:83], a[136:137], v[136:137], v[80:83]// 000000009150: D3E10050 0D431188
	buffer_load_dwordx4 a[4:7], v18, s[12:15], 0 offen offset:1024// 000000009158: E05C1400 80830412
	v_mfma_f32_16x16x16_bf16 v[80:83], a[138:139], v[138:139], v[80:83]// 000000009160: D3E10050 0D43158A
	ds_read_b32 v14, v4 offset:29696                           // 000000009168: D86C7400 0E000004
	ds_read_b32 v15, v4 offset:29728                           // 000000009170: D86C7420 0F000004
	v_mfma_f32_16x16x16_bf16 v[80:83], a[140:141], v[140:141], v[80:83]// 000000009178: D3E10050 0D43198C
	v_mfma_f32_16x16x16_bf16 v[80:83], a[142:143], v[142:143], v[80:83]// 000000009180: D3E10050 0D431D8E
	ds_read_b32 v16, v4 offset:29760                           // 000000009188: D86C7440 10000004
	ds_read_b32 v17, v4 offset:29792                           // 000000009190: D86C7460 11000004
	v_mfma_f32_16x16x16_bf16 v[84:87], a[128:129], v[192:193], 0// 000000009198: D3E10054 0A038180
	buffer_load_dwordx4 a[8:11], v18, s[12:15], 0 offen offset:2048// 0000000091A0: E05C1800 80830812
	v_mfma_f32_16x16x16_bf16 v[84:87], a[130:131], v[194:195], v[84:87]// 0000000091A8: D3E10054 0D538582
	v_mfma_f32_16x16x16_bf16 v[84:87], a[132:133], v[196:197], v[84:87]// 0000000091B0: D3E10054 0D538984
	v_mfma_f32_16x16x16_bf16 v[84:87], a[134:135], v[198:199], v[84:87]// 0000000091B8: D3E10054 0D538D86
	v_mfma_f32_16x16x16_bf16 v[84:87], a[136:137], v[200:201], v[84:87]// 0000000091C0: D3E10054 0D539188
	buffer_load_dwordx4 a[12:15], v18, s[12:15], 0 offen offset:3072// 0000000091C8: E05C1C00 80830C12
	v_mfma_f32_16x16x16_bf16 v[84:87], a[138:139], v[202:203], v[84:87]// 0000000091D0: D3E10054 0D53958A
	v_mfma_f32_16x16x16_bf16 v[84:87], a[140:141], v[204:205], v[84:87]// 0000000091D8: D3E10054 0D53998C
	s_waitcnt lgkmcnt(0)                                       // 0000000091E0: BF8CC07F
	s_mov_b64 exec, s[16:17]                                   // 0000000091E4: BEFE0110
	global_atomic_pk_add_f16 v34, v10, s[8:9]                  // 0000000091E8: DD388000 00080A22
	s_mov_b64 exec, s[38:39]                                   // 0000000091F0: BEFE0126
	v_mfma_f32_16x16x16_bf16 v[84:87], a[142:143], v[206:207], v[84:87]// 0000000091F4: D3E10054 0D539D8E
	v_mfma_f32_16x16x16_bf16 v[88:91], a[144:145], v[128:129], 0// 0000000091FC: D3E10058 0A030190
	buffer_load_dwordx4 a[16:19], v19, s[12:15], 0 offen       // 000000009204: E05C1000 80831013
	v_mfma_f32_16x16x16_bf16 v[88:91], a[146:147], v[130:131], v[88:91]// 00000000920C: D3E10058 0D630592
	v_mfma_f32_16x16x16_bf16 v[88:91], a[148:149], v[132:133], v[88:91]// 000000009214: D3E10058 0D630994
	v_mfma_f32_16x16x16_bf16 v[88:91], a[150:151], v[134:135], v[88:91]// 00000000921C: D3E10058 0D630D96
	v_mfma_f32_16x16x16_bf16 v[88:91], a[152:153], v[136:137], v[88:91]// 000000009224: D3E10058 0D631198
	buffer_load_dwordx4 a[20:23], v19, s[12:15], 0 offen offset:1024// 00000000922C: E05C1400 80831413
	v_mfma_f32_16x16x16_bf16 v[88:91], a[154:155], v[138:139], v[88:91]// 000000009234: D3E10058 0D63159A
	v_mfma_f32_16x16x16_bf16 v[88:91], a[156:157], v[140:141], v[88:91]// 00000000923C: D3E10058 0D63199C
	v_mfma_f32_16x16x16_bf16 v[88:91], a[158:159], v[142:143], v[88:91]// 000000009244: D3E10058 0D631D9E
	v_mfma_f32_16x16x16_bf16 v[92:95], a[144:145], v[192:193], 0// 00000000924C: D3E1005C 0A038190
	buffer_load_dwordx4 a[24:27], v19, s[12:15], 0 offen offset:2048// 000000009254: E05C1800 80831813
	v_mfma_f32_16x16x16_bf16 v[92:95], a[146:147], v[194:195], v[92:95]// 00000000925C: D3E1005C 0D738592
	v_mfma_f32_16x16x16_bf16 v[92:95], a[148:149], v[196:197], v[92:95]// 000000009264: D3E1005C 0D738994
	v_mfma_f32_16x16x16_bf16 v[92:95], a[150:151], v[198:199], v[92:95]// 00000000926C: D3E1005C 0D738D96
	v_mfma_f32_16x16x16_bf16 v[92:95], a[152:153], v[200:201], v[92:95]// 000000009274: D3E1005C 0D739198
	buffer_load_dwordx4 a[28:31], v19, s[12:15], 0 offen offset:3072// 00000000927C: E05C1C00 80831C13
	v_mfma_f32_16x16x16_bf16 v[92:95], a[154:155], v[202:203], v[92:95]// 000000009284: D3E1005C 0D73959A
	v_mfma_f32_16x16x16_bf16 v[92:95], a[156:157], v[204:205], v[92:95]// 00000000928C: D3E1005C 0D73999C
	s_mov_b64 exec, s[18:19]                                   // 000000009294: BEFE0112
	global_atomic_pk_add_f16 v36, v11, s[8:9]                  // 000000009298: DD388000 00080B24
	s_mov_b64 exec, s[38:39]                                   // 0000000092A0: BEFE0126
	v_mfma_f32_16x16x16_bf16 v[92:95], a[158:159], v[206:207], v[92:95]// 0000000092A4: D3E1005C 0D739D9E
	s_waitcnt vmcnt(30)                                        // 0000000092AC: BF8C4F7E
	v_mfma_f32_16x16x16_bf16 v[80:83], a[160:161], v[144:145], v[80:83]// 0000000092B0: D3E10050 0D4321A0
	buffer_load_dwordx4 a[32:35], v20, s[12:15], 0 offen       // 0000000092B8: E05C1000 80832014
	v_mfma_f32_16x16x16_bf16 v[80:83], a[162:163], v[146:147], v[80:83]// 0000000092C0: D3E10050 0D4325A2
	ds_write_b64 v3, v[64:65] offset:16640                     // 0000000092C8: D89A4100 00004003
	v_mfma_f32_16x16x16_bf16 v[80:83], a[164:165], v[148:149], v[80:83]// 0000000092D0: D3E10050 0D4329A4
	v_mfma_f32_16x16x16_bf16 v[80:83], a[166:167], v[150:151], v[80:83]// 0000000092D8: D3E10050 0D432DA6
	ds_write_b64 v3, v[66:67] offset:20992                     // 0000000092E0: D89A5200 00004203
	v_mfma_f32_16x16x16_bf16 v[80:83], a[168:169], v[152:153], v[80:83]// 0000000092E8: D3E10050 0D4331A8
	buffer_load_dwordx4 a[36:39], v20, s[12:15], 0 offen offset:1024// 0000000092F0: E05C1400 80832414
	v_mfma_f32_16x16x16_bf16 v[80:83], a[170:171], v[154:155], v[80:83]// 0000000092F8: D3E10050 0D4335AA
	ds_write_b64 v3, v[68:69] offset:18816                     // 000000009300: D89A4980 00004403
	v_mfma_f32_16x16x16_bf16 v[80:83], a[172:173], v[156:157], v[80:83]// 000000009308: D3E10050 0D4339AC
	v_mfma_f32_16x16x16_bf16 v[80:83], a[174:175], v[158:159], v[80:83]// 000000009310: D3E10050 0D433DAE
	ds_write_b64 v3, v[70:71] offset:23168                     // 000000009318: D89A5A80 00004603
	v_mfma_f32_16x16x16_bf16 v[84:87], a[160:161], v[208:209], v[84:87]// 000000009320: D3E10054 0D53A1A0
	buffer_load_dwordx4 a[40:43], v20, s[12:15], 0 offen offset:2048// 000000009328: E05C1800 80832814
	v_mfma_f32_16x16x16_bf16 v[84:87], a[162:163], v[210:211], v[84:87]// 000000009330: D3E10054 0D53A5A2
	v_mfma_f32_16x16x16_bf16 v[84:87], a[164:165], v[212:213], v[84:87]// 000000009338: D3E10054 0D53A9A4
	v_mfma_f32_16x16x16_bf16 v[84:87], a[166:167], v[214:215], v[84:87]// 000000009340: D3E10054 0D53ADA6
	v_mfma_f32_16x16x16_bf16 v[84:87], a[168:169], v[216:217], v[84:87]// 000000009348: D3E10054 0D53B1A8
	buffer_load_dwordx4 a[44:47], v20, s[12:15], 0 offen offset:3072// 000000009350: E05C1C00 80832C14
	v_mfma_f32_16x16x16_bf16 v[84:87], a[170:171], v[218:219], v[84:87]// 000000009358: D3E10054 0D53B5AA
	v_mfma_f32_16x16x16_bf16 v[84:87], a[172:173], v[220:221], v[84:87]// 000000009360: D3E10054 0D53B9AC
	s_mov_b64 exec, s[20:21]                                   // 000000009368: BEFE0114
	global_atomic_pk_add_f16 v38, v12, s[8:9]                  // 00000000936C: DD388000 00080C26
	s_mov_b64 exec, s[38:39]                                   // 000000009374: BEFE0126
	v_mfma_f32_16x16x16_bf16 v[84:87], a[174:175], v[222:223], v[84:87]// 000000009378: D3E10054 0D53BDAE
	v_mfma_f32_16x16x16_bf16 v[88:91], a[176:177], v[144:145], v[88:91]// 000000009380: D3E10058 0D6321B0
	buffer_load_dwordx4 a[48:51], v21, s[12:15], 0 offen       // 000000009388: E05C1000 80833015
	v_mfma_f32_16x16x16_bf16 v[88:91], a[178:179], v[146:147], v[88:91]// 000000009390: D3E10058 0D6325B2
	v_mfma_f32_16x16x16_bf16 v[88:91], a[180:181], v[148:149], v[88:91]// 000000009398: D3E10058 0D6329B4
	v_mfma_f32_16x16x16_bf16 v[88:91], a[182:183], v[150:151], v[88:91]// 0000000093A0: D3E10058 0D632DB6
	v_mfma_f32_16x16x16_bf16 v[88:91], a[184:185], v[152:153], v[88:91]// 0000000093A8: D3E10058 0D6331B8
	buffer_load_dwordx4 a[52:55], v21, s[12:15], 0 offen offset:1024// 0000000093B0: E05C1400 80833415
	v_mfma_f32_16x16x16_bf16 v[88:91], a[186:187], v[154:155], v[88:91]// 0000000093B8: D3E10058 0D6335BA
	v_mfma_f32_16x16x16_bf16 v[88:91], a[188:189], v[156:157], v[88:91]// 0000000093C0: D3E10058 0D6339BC
	v_mfma_f32_16x16x16_bf16 v[88:91], a[190:191], v[158:159], v[88:91]// 0000000093C8: D3E10058 0D633DBE
	v_mfma_f32_16x16x16_bf16 v[92:95], a[176:177], v[208:209], v[92:95]// 0000000093D0: D3E1005C 0D73A1B0
	buffer_load_dwordx4 a[56:59], v21, s[12:15], 0 offen offset:2048// 0000000093D8: E05C1800 80833815
	v_mfma_f32_16x16x16_bf16 v[92:95], a[178:179], v[210:211], v[92:95]// 0000000093E0: D3E1005C 0D73A5B2
	v_mfma_f32_16x16x16_bf16 v[92:95], a[180:181], v[212:213], v[92:95]// 0000000093E8: D3E1005C 0D73A9B4
	v_mfma_f32_16x16x16_bf16 v[92:95], a[182:183], v[214:215], v[92:95]// 0000000093F0: D3E1005C 0D73ADB6
	v_mfma_f32_16x16x16_bf16 v[92:95], a[184:185], v[216:217], v[92:95]// 0000000093F8: D3E1005C 0D73B1B8
	buffer_load_dwordx4 a[60:63], v21, s[12:15], 0 offen offset:3072// 000000009400: E05C1C00 80833C15
	v_mfma_f32_16x16x16_bf16 v[92:95], a[186:187], v[218:219], v[92:95]// 000000009408: D3E1005C 0D73B5BA
	v_mfma_f32_16x16x16_bf16 v[92:95], a[188:189], v[220:221], v[92:95]// 000000009410: D3E1005C 0D73B9BC
	s_mov_b64 exec, s[22:23]                                   // 000000009418: BEFE0116
	global_atomic_pk_add_f16 v40, v13, s[8:9]                  // 00000000941C: DD388000 00080D28
	s_mov_b64 exec, s[38:39]                                   // 000000009424: BEFE0126
	v_mfma_f32_16x16x16_bf16 v[92:95], a[190:191], v[222:223], v[92:95]// 000000009428: D3E1005C 0D73BDBE
	s_waitcnt vmcnt(30)                                        // 000000009430: BF8C4F7E
	v_mfma_f32_16x16x16_bf16 v[80:83], a[192:193], v[160:161], v[80:83]// 000000009434: D3E10050 0D4341C0
	buffer_load_dwordx4 a[64:67], v22, s[12:15], 0 offen       // 00000000943C: E05C1000 80834016
	v_mfma_f32_16x16x16_bf16 v[80:83], a[194:195], v[162:163], v[80:83]// 000000009444: D3E10050 0D4345C2
	v_mfma_f32_16x16x16_bf16 v[80:83], a[196:197], v[164:165], v[80:83]// 00000000944C: D3E10050 0D4349C4
	s_add_u32 s60, 0x100, s80                                  // 000000009454: 803C50FF 00000100
	s_cmp_lt_u32 s60, s81                                      // 00000000945C: BF0A513C
	s_cselect_b32 s56, s56, 0                                  // 000000009460: 85388038
	v_mfma_f32_16x16x16_bf16 v[80:83], a[198:199], v[166:167], v[80:83]// 000000009464: D3E10050 0D434DC6
	v_mfma_f32_16x16x16_bf16 v[80:83], a[200:201], v[168:169], v[80:83]// 00000000946C: D3E10050 0D4351C8
	buffer_load_dwordx4 a[68:71], v22, s[12:15], 0 offen offset:1024// 000000009474: E05C1400 80834416
	v_mfma_f32_16x16x16_bf16 v[80:83], a[202:203], v[170:171], v[80:83]// 00000000947C: D3E10050 0D4355CA
	v_mfma_f32_16x16x16_bf16 v[80:83], a[204:205], v[172:173], v[80:83]// 000000009484: D3E10050 0D4359CC
	s_cmp_ge_u32 s80, 0x100                                    // 00000000948C: BF09FF50 00000100
	s_cselect_b32 s59, 0x100, s59                              // 000000009494: 853B3BFF 00000100
	v_mfma_f32_16x16x16_bf16 v[80:83], a[206:207], v[174:175], v[80:83]// 00000000949C: D3E10050 0D435DCE
	v_mfma_f32_16x16x16_bf16 v[84:87], a[192:193], v[224:225], v[84:87]// 0000000094A4: D3E10054 0D53C1C0
	buffer_load_dwordx4 a[72:75], v22, s[12:15], 0 offen offset:2048// 0000000094AC: E05C1800 80834816
	v_mfma_f32_16x16x16_bf16 v[84:87], a[194:195], v[226:227], v[84:87]// 0000000094B4: D3E10054 0D53C5C2
	v_mfma_f32_16x16x16_bf16 v[84:87], a[196:197], v[228:229], v[84:87]// 0000000094BC: D3E10054 0D53C9C4
	s_add_u32 s16, s57, s16                                    // 0000000094C4: 80101039
	s_addc_u32 s17, 0, s17                                     // 0000000094C8: 82111180
	v_mfma_f32_16x16x16_bf16 v[84:87], a[198:199], v[230:231], v[84:87]// 0000000094CC: D3E10054 0D53CDC6
	v_mfma_f32_16x16x16_bf16 v[84:87], a[200:201], v[232:233], v[84:87]// 0000000094D4: D3E10054 0D53D1C8
	buffer_load_dwordx4 a[76:79], v22, s[12:15], 0 offen offset:3072// 0000000094DC: E05C1C00 80834C16
	v_mfma_f32_16x16x16_bf16 v[84:87], a[202:203], v[234:235], v[84:87]// 0000000094E4: D3E10054 0D53D5CA
	v_mfma_f32_16x16x16_bf16 v[84:87], a[204:205], v[236:237], v[84:87]// 0000000094EC: D3E10054 0D53D9CC
	s_mov_b64 exec, s[24:25]                                   // 0000000094F4: BEFE0118
	global_atomic_pk_add_f16 v42, v14, s[8:9]                  // 0000000094F8: DD388000 00080E2A
	s_mov_b64 exec, s[38:39]                                   // 000000009500: BEFE0126
	v_mfma_f32_16x16x16_bf16 v[84:87], a[206:207], v[238:239], v[84:87]// 000000009504: D3E10054 0D53DDCE
	v_mfma_f32_16x16x16_bf16 v[88:91], a[208:209], v[160:161], v[88:91]// 00000000950C: D3E10058 0D6341D0
	buffer_load_dwordx4 a[80:83], v23, s[12:15], 0 offen       // 000000009514: E05C1000 80835017
	v_mfma_f32_16x16x16_bf16 v[88:91], a[210:211], v[162:163], v[88:91]// 00000000951C: D3E10058 0D6345D2
	v_mfma_f32_16x16x16_bf16 v[88:91], a[212:213], v[164:165], v[88:91]// 000000009524: D3E10058 0D6349D4
	v_mfma_f32_16x16x16_bf16 v[88:91], a[214:215], v[166:167], v[88:91]// 00000000952C: D3E10058 0D634DD6
	v_mfma_f32_16x16x16_bf16 v[88:91], a[216:217], v[168:169], v[88:91]// 000000009534: D3E10058 0D6351D8
	buffer_load_dwordx4 a[84:87], v23, s[12:15], 0 offen offset:1024// 00000000953C: E05C1400 80835417
	v_mfma_f32_16x16x16_bf16 v[88:91], a[218:219], v[170:171], v[88:91]// 000000009544: D3E10058 0D6355DA
	v_mfma_f32_16x16x16_bf16 v[88:91], a[220:221], v[172:173], v[88:91]// 00000000954C: D3E10058 0D6359DC
	v_mfma_f32_16x16x16_bf16 v[88:91], a[222:223], v[174:175], v[88:91]// 000000009554: D3E10058 0D635DDE
	v_mfma_f32_16x16x16_bf16 v[92:95], a[208:209], v[224:225], v[92:95]// 00000000955C: D3E1005C 0D73C1D0
	buffer_load_dwordx4 a[88:91], v23, s[12:15], 0 offen offset:2048// 000000009564: E05C1800 80835817
	v_mfma_f32_16x16x16_bf16 v[92:95], a[210:211], v[226:227], v[92:95]// 00000000956C: D3E1005C 0D73C5D2
	v_mfma_f32_16x16x16_bf16 v[92:95], a[212:213], v[228:229], v[92:95]// 000000009574: D3E1005C 0D73C9D4
	v_mfma_f32_16x16x16_bf16 v[92:95], a[214:215], v[230:231], v[92:95]// 00000000957C: D3E1005C 0D73CDD6
	v_mfma_f32_16x16x16_bf16 v[92:95], a[216:217], v[232:233], v[92:95]// 000000009584: D3E1005C 0D73D1D8
	buffer_load_dwordx4 a[92:95], v23, s[12:15], 0 offen offset:3072// 00000000958C: E05C1C00 80835C17
	v_mfma_f32_16x16x16_bf16 v[92:95], a[218:219], v[234:235], v[92:95]// 000000009594: D3E1005C 0D73D5DA
	v_mfma_f32_16x16x16_bf16 v[92:95], a[220:221], v[236:237], v[92:95]// 00000000959C: D3E1005C 0D73D9DC
	s_mov_b64 exec, s[26:27]                                   // 0000000095A4: BEFE011A
	global_atomic_pk_add_f16 v44, v15, s[8:9]                  // 0000000095A8: DD388000 00080F2C
	s_mov_b64 exec, s[38:39]                                   // 0000000095B0: BEFE0126
	v_mfma_f32_16x16x16_bf16 v[92:95], a[222:223], v[238:239], v[92:95]// 0000000095B4: D3E1005C 0D73DDDE
	s_waitcnt vmcnt(30)                                        // 0000000095BC: BF8C4F7E
	v_mfma_f32_16x16x16_bf16 v[80:83], a[224:225], v[176:177], v[80:83]// 0000000095C0: D3E10050 0D4361E0
	buffer_load_dwordx4 a[96:99], v24, s[12:15], 0 offen       // 0000000095C8: E05C1000 80836018
	v_mfma_f32_16x16x16_bf16 v[80:83], a[226:227], v[178:179], v[80:83]// 0000000095D0: D3E10050 0D4365E2
	v_mfma_f32_16x16x16_bf16 v[80:83], a[228:229], v[180:181], v[80:83]// 0000000095D8: D3E10050 0D4369E4
	v_mfma_f32_16x16x16_bf16 v[80:83], a[230:231], v[182:183], v[80:83]// 0000000095E0: D3E10050 0D436DE6
	v_mfma_f32_16x16x16_bf16 v[80:83], a[232:233], v[184:185], v[80:83]// 0000000095E8: D3E10050 0D4371E8
	buffer_load_dwordx4 a[100:103], v24, s[12:15], 0 offen offset:1024// 0000000095F0: E05C1400 80836418
	v_mfma_f32_16x16x16_bf16 v[80:83], a[234:235], v[186:187], v[80:83]// 0000000095F8: D3E10050 0D4375EA
	v_mfma_f32_16x16x16_bf16 v[80:83], a[236:237], v[188:189], v[80:83]// 000000009600: D3E10050 0D4379EC
	v_mfma_f32_16x16x16_bf16 v[80:83], a[238:239], v[190:191], v[80:83]// 000000009608: D3E10050 0D437DEE
	v_mfma_f32_16x16x16_bf16 v[84:87], a[224:225], v[240:241], v[84:87]// 000000009610: D3E10054 0D53E1E0
	buffer_load_dwordx4 a[104:107], v24, s[12:15], 0 offen offset:2048// 000000009618: E05C1800 80836818
	v_mfma_f32_16x16x16_bf16 v[84:87], a[226:227], v[242:243], v[84:87]// 000000009620: D3E10054 0D53E5E2
	v_mfma_f32_16x16x16_bf16 v[84:87], a[228:229], v[244:245], v[84:87]// 000000009628: D3E10054 0D53E9E4
	v_mfma_f32_16x16x16_bf16 v[84:87], a[230:231], v[246:247], v[84:87]// 000000009630: D3E10054 0D53EDE6
	v_mfma_f32_16x16x16_bf16 v[84:87], a[232:233], v[248:249], v[84:87]// 000000009638: D3E10054 0D53F1E8
	buffer_load_dwordx4 a[108:111], v24, s[12:15], 0 offen offset:3072// 000000009640: E05C1C00 80836C18
	v_mfma_f32_16x16x16_bf16 v[84:87], a[234:235], v[250:251], v[84:87]// 000000009648: D3E10054 0D53F5EA
	v_mfma_f32_16x16x16_bf16 v[84:87], a[236:237], v[252:253], v[84:87]// 000000009650: D3E10054 0D53F9EC
	s_mov_b64 exec, s[28:29]                                   // 000000009658: BEFE011C
	global_atomic_pk_add_f16 v46, v16, s[8:9]                  // 00000000965C: DD388000 0008102E
	s_mov_b64 exec, s[38:39]                                   // 000000009664: BEFE0126
	v_mfma_f32_16x16x16_bf16 v[84:87], a[238:239], v[254:255], v[84:87]// 000000009668: D3E10054 0D53FDEE
	v_mfma_f32_16x16x16_bf16 v[88:91], a[240:241], v[176:177], v[88:91]// 000000009670: D3E10058 0D6361F0
	buffer_load_dwordx4 a[112:115], v25, s[12:15], 0 offen     // 000000009678: E05C1000 80837019
	v_mfma_f32_16x16x16_bf16 v[88:91], a[242:243], v[178:179], v[88:91]// 000000009680: D3E10058 0D6365F2
	v_mfma_f32_16x16x16_bf16 v[88:91], a[244:245], v[180:181], v[88:91]// 000000009688: D3E10058 0D6369F4
	v_mfma_f32_16x16x16_bf16 v[88:91], a[246:247], v[182:183], v[88:91]// 000000009690: D3E10058 0D636DF6
	v_mfma_f32_16x16x16_bf16 v[88:91], a[248:249], v[184:185], v[88:91]// 000000009698: D3E10058 0D6371F8
	buffer_load_dwordx4 a[116:119], v25, s[12:15], 0 offen offset:1024// 0000000096A0: E05C1400 80837419
	v_mfma_f32_16x16x16_bf16 v[88:91], a[250:251], v[186:187], v[88:91]// 0000000096A8: D3E10058 0D6375FA
	v_mfma_f32_16x16x16_bf16 v[88:91], a[252:253], v[188:189], v[88:91]// 0000000096B0: D3E10058 0D6379FC
	v_mfma_f32_16x16x16_bf16 v[88:91], a[254:255], v[190:191], v[88:91]// 0000000096B8: D3E10058 0D637DFE
	v_mfma_f32_16x16x16_bf16 v[92:95], a[240:241], v[240:241], v[92:95]// 0000000096C0: D3E1005C 0D73E1F0
	buffer_load_dwordx4 a[120:123], v25, s[12:15], 0 offen offset:2048// 0000000096C8: E05C1800 80837819
	v_mfma_f32_16x16x16_bf16 v[92:95], a[242:243], v[242:243], v[92:95]// 0000000096D0: D3E1005C 0D73E5F2
	v_mfma_f32_16x16x16_bf16 v[92:95], a[244:245], v[244:245], v[92:95]// 0000000096D8: D3E1005C 0D73E9F4
	v_mfma_f32_16x16x16_bf16 v[92:95], a[246:247], v[246:247], v[92:95]// 0000000096E0: D3E1005C 0D73EDF6
	v_mfma_f32_16x16x16_bf16 v[92:95], a[248:249], v[248:249], v[92:95]// 0000000096E8: D3E1005C 0D73F1F8
	buffer_load_dwordx4 a[124:127], v25, s[12:15], 0 offen offset:3072// 0000000096F0: E05C1C00 80837C19
	v_mfma_f32_16x16x16_bf16 v[92:95], a[250:251], v[250:251], v[92:95]// 0000000096F8: D3E1005C 0D73F5FA
	v_mfma_f32_16x16x16_bf16 v[92:95], a[252:253], v[252:253], v[92:95]// 000000009700: D3E1005C 0D73F9FC
	s_mov_b64 exec, s[30:31]                                   // 000000009708: BEFE011E
	global_atomic_pk_add_f16 v48, v17, s[8:9]                  // 00000000970C: DD388000 00081130
	s_mov_b64 exec, s[38:39]                                   // 000000009714: BEFE0126
	s_add_u32 s12, s56, s12                                    // 000000009718: 800C0C38
	s_addc_u32 s13, 0, s13                                     // 00000000971C: 820D0D80
	v_mfma_f32_16x16x16_bf16 v[92:95], a[254:255], v[254:255], v[92:95]// 000000009720: D3E1005C 0D73FDFE
	s_add_u32 s8, s59, s8                                      // 000000009728: 8008083B
	s_addc_u32 s9, 0, s9                                       // 00000000972C: 82090980
	v_mul_f32_e32 v80, v8, v80                                 // 000000009730: 0AA0A108
	v_mul_f32_e32 v81, v8, v81                                 // 000000009734: 0AA2A308
	v_mul_f32_e32 v82, v8, v82                                 // 000000009738: 0AA4A508
	v_mul_f32_e32 v83, v8, v83                                 // 00000000973C: 0AA6A708
	v_mul_f32_e32 v84, v9, v84                                 // 000000009740: 0AA8A909
	v_mul_f32_e32 v85, v9, v85                                 // 000000009744: 0AAAAB09
	v_mul_f32_e32 v86, v9, v86                                 // 000000009748: 0AACAD09
	v_mul_f32_e32 v87, v9, v87                                 // 00000000974C: 0AAEAF09
	v_mul_f32_e32 v88, v8, v88                                 // 000000009750: 0AB0B108
	v_mul_f32_e32 v89, v8, v89                                 // 000000009754: 0AB2B308
	v_mul_f32_e32 v90, v8, v90                                 // 000000009758: 0AB4B508
	v_mul_f32_e32 v91, v8, v91                                 // 00000000975C: 0AB6B708
	v_mul_f32_e32 v92, v9, v92                                 // 000000009760: 0AB8B909
	v_mul_f32_e32 v93, v9, v93                                 // 000000009764: 0ABABB09
	v_mul_f32_e32 v94, v9, v94                                 // 000000009768: 0ABCBD09
	v_mul_f32_e32 v95, v9, v95                                 // 00000000976C: 0ABEBF09
	v_cvt_pkrtz_f16_f32 v80, v80, v81                          // 000000009770: D2960050 0002A350
	v_cvt_pkrtz_f16_f32 v81, v82, v83                          // 000000009778: D2960051 0002A752
	v_cvt_pkrtz_f16_f32 v82, v84, v85                          // 000000009780: D2960052 0002AB54
	v_cvt_pkrtz_f16_f32 v83, v86, v87                          // 000000009788: D2960053 0002AF56
	v_cvt_pkrtz_f16_f32 v84, v88, v89                          // 000000009790: D2960054 0002B358
	v_cvt_pkrtz_f16_f32 v85, v90, v91                          // 000000009798: D2960055 0002B75A
	v_cvt_pkrtz_f16_f32 v86, v92, v93                          // 0000000097A0: D2960056 0002BB5C
	v_cvt_pkrtz_f16_f32 v87, v94, v95                          // 0000000097A8: D2960057 0002BF5E
	s_addk_i32 s80, 0x80                                       // 0000000097B0: B7500080
	s_cmp_lt_i32 s80, s81                                      // 0000000097B4: BF045150
	s_cbranch_scc0 label_0E67                                  // 0000000097B8: BF84F3F8
	s_branch label_1711                                        // 0000000097BC: BF82FCA1

00000000000097c0 <label_1A70>:
	s_waitcnt lgkmcnt(0)                                       // 0000000097C0: BF8CC07F
	s_barrier                                                  // 0000000097C4: BF8A0000
	ds_read_b32 v10, v4 offset:16640                           // 0000000097C8: D86C4100 0A000004
	ds_read_b32 v11, v4 offset:16672                           // 0000000097D0: D86C4120 0B000004
	ds_read_b32 v12, v4 offset:16704                           // 0000000097D8: D86C4140 0C000004
	ds_read_b32 v13, v4 offset:16736                           // 0000000097E0: D86C4160 0D000004
	ds_read_b32 v14, v4 offset:20992                           // 0000000097E8: D86C5200 0E000004
	ds_read_b32 v15, v4 offset:21024                           // 0000000097F0: D86C5220 0F000004
	ds_read_b32 v16, v4 offset:21056                           // 0000000097F8: D86C5240 10000004
	ds_read_b32 v17, v4 offset:21088                           // 000000009800: D86C5260 11000004
	s_waitcnt lgkmcnt(0)                                       // 000000009808: BF8CC07F
	s_mov_b64 exec, s[16:17]                                   // 00000000980C: BEFE0110
	global_atomic_pk_add_f16 v34, v10, s[8:9]                  // 000000009810: DD388000 00080A22
	s_mov_b64 exec, s[38:39]                                   // 000000009818: BEFE0126
	s_mov_b64 exec, s[18:19]                                   // 00000000981C: BEFE0112
	global_atomic_pk_add_f16 v36, v11, s[8:9]                  // 000000009820: DD388000 00080B24
	s_mov_b64 exec, s[38:39]                                   // 000000009828: BEFE0126
	s_mov_b64 exec, s[20:21]                                   // 00000000982C: BEFE0114
	global_atomic_pk_add_f16 v38, v12, s[8:9]                  // 000000009830: DD388000 00080C26
	s_mov_b64 exec, s[38:39]                                   // 000000009838: BEFE0126
	s_mov_b64 exec, s[22:23]                                   // 00000000983C: BEFE0116
	global_atomic_pk_add_f16 v40, v13, s[8:9]                  // 000000009840: DD388000 00080D28
	s_mov_b64 exec, s[38:39]                                   // 000000009848: BEFE0126
	s_mov_b64 exec, s[24:25]                                   // 00000000984C: BEFE0118
	global_atomic_pk_add_f16 v42, v14, s[8:9]                  // 000000009850: DD388000 00080E2A
	s_mov_b64 exec, s[38:39]                                   // 000000009858: BEFE0126
	s_mov_b64 exec, s[26:27]                                   // 00000000985C: BEFE011A
	global_atomic_pk_add_f16 v44, v15, s[8:9]                  // 000000009860: DD388000 00080F2C
	s_mov_b64 exec, s[38:39]                                   // 000000009868: BEFE0126
	s_mov_b64 exec, s[28:29]                                   // 00000000986C: BEFE011C
	global_atomic_pk_add_f16 v46, v16, s[8:9]                  // 000000009870: DD388000 0008102E
	s_mov_b64 exec, s[38:39]                                   // 000000009878: BEFE0126
	s_mov_b64 exec, s[30:31]                                   // 00000000987C: BEFE011E
	global_atomic_pk_add_f16 v48, v17, s[8:9]                  // 000000009880: DD388000 00081130
	s_mov_b64 exec, s[38:39]                                   // 000000009888: BEFE0126
	s_add_u32 s8, s59, s8                                      // 00000000988C: 8008083B
	s_addc_u32 s9, 0, s9                                       // 000000009890: 82090980
	ds_write_b64 v3, v[80:81] offset:25344                     // 000000009894: D89A6300 00005003
	ds_write_b64 v3, v[82:83] offset:29696                     // 00000000989C: D89A7400 00005203
	ds_write_b64 v3, v[84:85] offset:27520                     // 0000000098A4: D89A6B80 00005403
	ds_write_b64 v3, v[86:87] offset:31872                     // 0000000098AC: D89A7C80 00005603
	s_waitcnt lgkmcnt(0)                                       // 0000000098B4: BF8CC07F
	s_barrier                                                  // 0000000098B8: BF8A0000
	ds_read_b32 v10, v4 offset:25344                           // 0000000098BC: D86C6300 0A000004
	ds_read_b32 v11, v4 offset:25376                           // 0000000098C4: D86C6320 0B000004
	ds_read_b32 v12, v4 offset:25408                           // 0000000098CC: D86C6340 0C000004
	ds_read_b32 v13, v4 offset:25440                           // 0000000098D4: D86C6360 0D000004
	ds_read_b32 v14, v4 offset:29696                           // 0000000098DC: D86C7400 0E000004
	ds_read_b32 v15, v4 offset:29728                           // 0000000098E4: D86C7420 0F000004
	ds_read_b32 v16, v4 offset:29760                           // 0000000098EC: D86C7440 10000004
	ds_read_b32 v17, v4 offset:29792                           // 0000000098F4: D86C7460 11000004
	s_waitcnt lgkmcnt(0)                                       // 0000000098FC: BF8CC07F
	s_mov_b64 exec, s[16:17]                                   // 000000009900: BEFE0110
	global_atomic_pk_add_f16 v34, v10, s[8:9]                  // 000000009904: DD388000 00080A22
	s_mov_b64 exec, s[38:39]                                   // 00000000990C: BEFE0126
	s_mov_b64 exec, s[18:19]                                   // 000000009910: BEFE0112
	global_atomic_pk_add_f16 v36, v11, s[8:9]                  // 000000009914: DD388000 00080B24
	s_mov_b64 exec, s[38:39]                                   // 00000000991C: BEFE0126
	s_mov_b64 exec, s[20:21]                                   // 000000009920: BEFE0114
	global_atomic_pk_add_f16 v38, v12, s[8:9]                  // 000000009924: DD388000 00080C26
	s_mov_b64 exec, s[38:39]                                   // 00000000992C: BEFE0126
	s_mov_b64 exec, s[22:23]                                   // 000000009930: BEFE0116
	global_atomic_pk_add_f16 v40, v13, s[8:9]                  // 000000009934: DD388000 00080D28
	s_mov_b64 exec, s[38:39]                                   // 00000000993C: BEFE0126
	s_mov_b64 exec, s[24:25]                                   // 000000009940: BEFE0118
	global_atomic_pk_add_f16 v42, v14, s[8:9]                  // 000000009944: DD388000 00080E2A
	s_mov_b64 exec, s[38:39]                                   // 00000000994C: BEFE0126
	s_mov_b64 exec, s[26:27]                                   // 000000009950: BEFE011A
	global_atomic_pk_add_f16 v44, v15, s[8:9]                  // 000000009954: DD388000 00080F2C
	s_mov_b64 exec, s[38:39]                                   // 00000000995C: BEFE0126
	s_mov_b64 exec, s[28:29]                                   // 000000009960: BEFE011C
	global_atomic_pk_add_f16 v46, v16, s[8:9]                  // 000000009964: DD388000 0008102E
	s_mov_b64 exec, s[38:39]                                   // 00000000996C: BEFE0126
	s_mov_b64 exec, s[30:31]                                   // 000000009970: BEFE011E
	global_atomic_pk_add_f16 v48, v17, s[8:9]                  // 000000009974: DD388000 00081130
	s_mov_b64 exec, s[38:39]                                   // 00000000997C: BEFE0126
	s_waitcnt vmcnt(0) expcnt(0) lgkmcnt(0)                    // 000000009980: BF8C0000
	s_add_u32 s100, s100, 1                                    // 000000009984: 80648164
	s_cmp_eq_u32 s96, 0                                        // 000000009988: BF068060
	s_cbranch_scc0 label_0039                                  // 00000000998C: BF84E555

0000000000009990 <label_1AE4>:
	s_waitcnt vmcnt(0) expcnt(0) lgkmcnt(0)                    // 000000009990: BF8C0000
	s_endpgm                                                   // 000000009994: BF810000
